;; amdgpu-corpus repo=ROCm/Tensile kind=harvested arch=n/a opt=n/a

/******************************************/
/* Function Prefix                        */
/******************************************/



/******************************************/
/* Begin Kernel                           */
/******************************************/

// Component.Signature.SignatureDefault
.amdgcn_target "amdgcn-amd-amdhsa--gfx90a"
.text
.protected Cijk_Alik_Bljk_DB_GB_MT128x16x32_MI16x16x4x1_SN_1LDSB1_APM1_AF0EM1_AF1EM1_AMAS3_ASGT_ASLT_ASAE01_ASCE01_ASEM1_BL1_BS1_CLR0_DTLA0_DTLB0_DTVA0_DVO0_EPS0_FL0_GLVWA2_GLVWB2_GRVW2_GSU55_GSUASB_GLS1_ISA90a_IU2_K1_KLA_LBSPPA0_LBSPPB0_LPA0_LPB0_LDL1_LRVW1_LDW0_MAC_MIAV0_MMFGLC_NTA0_NTB0_NTC0_NTD0_NEPBS1_NLCA1_NLCB1_ONLL1_OPLV0_PK0_PAP0_PGR2_PLR5_SIA3_SS1_SU0_SUM0_SUS0_SCIUI1_SPO1_SRVW0_SSO6_SVW2_SNLL0_TT4_16_TLDS0_UMLDSA0_UMLDSB0_USFGROn1_VAW1_VSn1_VW2_VWB1_VFLRP0_WSGRA0_WSGRB0_WG32_4_1_WGM11
.globl Cijk_Alik_Bljk_DB_GB_MT128x16x32_MI16x16x4x1_SN_1LDSB1_APM1_AF0EM1_AF1EM1_AMAS3_ASGT_ASLT_ASAE01_ASCE01_ASEM1_BL1_BS1_CLR0_DTLA0_DTLB0_DTVA0_DVO0_EPS0_FL0_GLVWA2_GLVWB2_GRVW2_GSU55_GSUASB_GLS1_ISA90a_IU2_K1_KLA_LBSPPA0_LBSPPB0_LPA0_LPB0_LDL1_LRVW1_LDW0_MAC_MIAV0_MMFGLC_NTA0_NTB0_NTC0_NTD0_NEPBS1_NLCA1_NLCB1_ONLL1_OPLV0_PK0_PAP0_PGR2_PLR5_SIA3_SS1_SU0_SUM0_SUS0_SCIUI1_SPO1_SRVW0_SSO6_SVW2_SNLL0_TT4_16_TLDS0_UMLDSA0_UMLDSB0_USFGROn1_VAW1_VSn1_VW2_VWB1_VFLRP0_WSGRA0_WSGRB0_WG32_4_1_WGM11
.p2align 8
.type Cijk_Alik_Bljk_DB_GB_MT128x16x32_MI16x16x4x1_SN_1LDSB1_APM1_AF0EM1_AF1EM1_AMAS3_ASGT_ASLT_ASAE01_ASCE01_ASEM1_BL1_BS1_CLR0_DTLA0_DTLB0_DTVA0_DVO0_EPS0_FL0_GLVWA2_GLVWB2_GRVW2_GSU55_GSUASB_GLS1_ISA90a_IU2_K1_KLA_LBSPPA0_LBSPPB0_LPA0_LPB0_LDL1_LRVW1_LDW0_MAC_MIAV0_MMFGLC_NTA0_NTB0_NTC0_NTD0_NEPBS1_NLCA1_NLCB1_ONLL1_OPLV0_PK0_PAP0_PGR2_PLR5_SIA3_SS1_SU0_SUM0_SUS0_SCIUI1_SPO1_SRVW0_SSO6_SVW2_SNLL0_TT4_16_TLDS0_UMLDSA0_UMLDSB0_USFGROn1_VAW1_VSn1_VW2_VWB1_VFLRP0_WSGRA0_WSGRB0_WG32_4_1_WGM11,@function
.section .rodata,#alloc
.p2align 6
.amdhsa_kernel Cijk_Alik_Bljk_DB_GB_MT128x16x32_MI16x16x4x1_SN_1LDSB1_APM1_AF0EM1_AF1EM1_AMAS3_ASGT_ASLT_ASAE01_ASCE01_ASEM1_BL1_BS1_CLR0_DTLA0_DTLB0_DTVA0_DVO0_EPS0_FL0_GLVWA2_GLVWB2_GRVW2_GSU55_GSUASB_GLS1_ISA90a_IU2_K1_KLA_LBSPPA0_LBSPPB0_LPA0_LPB0_LDL1_LRVW1_LDW0_MAC_MIAV0_MMFGLC_NTA0_NTB0_NTC0_NTD0_NEPBS1_NLCA1_NLCB1_ONLL1_OPLV0_PK0_PAP0_PGR2_PLR5_SIA3_SS1_SU0_SUM0_SUS0_SCIUI1_SPO1_SRVW0_SSO6_SVW2_SNLL0_TT4_16_TLDS0_UMLDSA0_UMLDSB0_USFGROn1_VAW1_VSn1_VW2_VWB1_VFLRP0_WSGRA0_WSGRB0_WG32_4_1_WGM11
  .amdhsa_user_sgpr_kernarg_segment_ptr 1
  .amdhsa_user_sgpr_kernarg_preload_offset 0
  .amdhsa_user_sgpr_kernarg_preload_length 0
  .amdhsa_user_sgpr_count 2
  .amdhsa_accum_offset 256 // accvgpr offset
  .amdhsa_next_free_vgpr 288 // vgprs
  .amdhsa_next_free_sgpr 84 // sgprs
  .amdhsa_group_segment_fixed_size 36864 // lds bytes
  .amdhsa_private_segment_fixed_size 0
  .amdhsa_system_sgpr_workgroup_id_x 1
  .amdhsa_system_sgpr_workgroup_id_y 1
  .amdhsa_system_sgpr_workgroup_id_z 1
  .amdhsa_system_vgpr_workitem_id 0
  .amdhsa_float_denorm_mode_32 3
  .amdhsa_float_denorm_mode_16_64 3
.end_amdhsa_kernel
.text

/******************************************/
/* Optimizations and Config:              */
/******************************************/
/* ThreadTile= 16 x 1 */
/* SubGroup= 8 x 16 */
/* VectorWidthA=2 */
/* VectorWidthB=1 */
/* GlobalLoadVectorWidthA=2, GlobalLoadVectorWidthB=2 */
/* DirectToLdsA=False */
/* DirectToLdsB=False */
/* UseSgprForGRO=1 */
.amdgpu_metadata
---
amdhsa.version:
  - 1
  - 1
amdhsa.target: amdgcn-amd-amdhsa--gfx90a
amdhsa.kernels:
  - .name: Cijk_Alik_Bljk_DB_GB_MT128x16x32_MI16x16x4x1_SN_1LDSB1_APM1_AF0EM1_AF1EM1_AMAS3_ASGT_ASLT_ASAE01_ASCE01_ASEM1_BL1_BS1_CLR0_DTLA0_DTLB0_DTVA0_DVO0_EPS0_FL0_GLVWA2_GLVWB2_GRVW2_GSU55_GSUASB_GLS1_ISA90a_IU2_K1_KLA_LBSPPA0_LBSPPB0_LPA0_LPB0_LDL1_LRVW1_LDW0_MAC_MIAV0_MMFGLC_NTA0_NTB0_NTC0_NTD0_NEPBS1_NLCA1_NLCB1_ONLL1_OPLV0_PK0_PAP0_PGR2_PLR5_SIA3_SS1_SU0_SUM0_SUS0_SCIUI1_SPO1_SRVW0_SSO6_SVW2_SNLL0_TT4_16_TLDS0_UMLDSA0_UMLDSB0_USFGROn1_VAW1_VSn1_VW2_VWB1_VFLRP0_WSGRA0_WSGRB0_WG32_4_1_WGM11
    .symbol: 'Cijk_Alik_Bljk_DB_GB_MT128x16x32_MI16x16x4x1_SN_1LDSB1_APM1_AF0EM1_AF1EM1_AMAS3_ASGT_ASLT_ASAE01_ASCE01_ASEM1_BL1_BS1_CLR0_DTLA0_DTLB0_DTVA0_DVO0_EPS0_FL0_GLVWA2_GLVWB2_GRVW2_GSU55_GSUASB_GLS1_ISA90a_IU2_K1_KLA_LBSPPA0_LBSPPB0_LPA0_LPB0_LDL1_LRVW1_LDW0_MAC_MIAV0_MMFGLC_NTA0_NTB0_NTC0_NTD0_NEPBS1_NLCA1_NLCB1_ONLL1_OPLV0_PK0_PAP0_PGR2_PLR5_SIA3_SS1_SU0_SUM0_SUS0_SCIUI1_SPO1_SRVW0_SSO6_SVW2_SNLL0_TT4_16_TLDS0_UMLDSA0_UMLDSB0_USFGROn1_VAW1_VSn1_VW2_VWB1_VFLRP0_WSGRA0_WSGRB0_WG32_4_1_WGM11.kd'
    .language:                   OpenCL C
    .language_version:
      - 2
      - 0
    .args:
      - .name:            Tensor2dSizeA
        .size:            8
        .offset:          0
        .value_kind:      by_value
        .value_type:      u64
      - .name:            Tensor2dSizeB
        .size:            8
        .offset:          8
        .value_kind:      by_value
        .value_type:      u64
      - .name:            AddressD
        .size:            8
        .offset:          16
        .value_kind:      by_value
        .value_type:      u64
      - .name:            AddressC
        .size:            8
        .offset:          24
        .value_kind:      by_value
        .value_type:      u64
      - .name:            AddressA
        .size:            8
        .offset:          32
        .value_kind:      by_value
        .value_type:      u64
      - .name:            AddressB
        .size:            8
        .offset:          40
        .value_kind:      by_value
        .value_type:      u64
      - .name:            OffsetD
        .size:            8
        .offset:          48
        .value_kind:      by_value
        .value_type:      u64
      - .name:            OffsetC
        .size:            8
        .offset:          56
        .value_kind:      by_value
        .value_type:      u64
      - .name:            OffsetA
        .size:            8
        .offset:          64
        .value_kind:      by_value
        .value_type:      u64
      - .name:            OffsetB
        .size:            8
        .offset:          72
        .value_kind:      by_value
        .value_type:      u64
      - .name:            Alpha
        .size:            8
        .offset:          80
        .value_kind:      by_value
        .value_type:      u64
      - .name:            Beta
        .size:            8
        .offset:          88
        .value_kind:      by_value
        .value_type:      u64
      - .name:            StridesD
        .size:            8
        .offset:          96
        .value_kind:      by_value
        .value_type:      u64
      - .name:            StridesC
        .size:            8
        .offset:          104
        .value_kind:      by_value
        .value_type:      u64
      - .name:            StridesA
        .size:            8
        .offset:          112
        .value_kind:      by_value
        .value_type:      u64
      - .name:            StridesB
        .size:            8
        .offset:          120
        .value_kind:      by_value
        .value_type:      u64
      - .name:            SizesFree
        .size:            12
        .offset:          128
        .value_kind:      by_value
        .value_type:      u96
      - .name:            SizesSum
        .size:            4
        .offset:          140
        .value_kind:      by_value
        .value_type:      u32
      - .name:            NumWorkGroups0
        .size:            4
        .offset:          144
        .value_kind:      by_value
        .value_type:      u32
      - .name:            NumWorkGroups1
        .size:            4
        .offset:          148
        .value_kind:      by_value
        .value_type:      u32
      - .name:            NumFullBlocks
        .size:            4
        .offset:          152
        .value_kind:      by_value
        .value_type:      u32
      - .name:            WgmRemainder1
        .size:            4
        .offset:          156
        .value_kind:      by_value
        .value_type:      u32
      - .name:            MagicNumberWgmRemainder1
        .size:            4
        .offset:          160
        .value_kind:      by_value
        .value_type:      u32
    .group_segment_fixed_size:   36864
    .kernarg_segment_align:      8
    .kernarg_segment_size:       168
    .max_flat_workgroup_size:    128
    .private_segment_fixed_size: 0
    .sgpr_count:                 84
    .sgpr_spill_count:           0
    .vgpr_count:                 256
    .vgpr_spill_count:           0
    .wavefront_size:             64
...
.end_amdgpu_metadata
Cijk_Alik_Bljk_DB_GB_MT128x16x32_MI16x16x4x1_SN_1LDSB1_APM1_AF0EM1_AF1EM1_AMAS3_ASGT_ASLT_ASAE01_ASCE01_ASEM1_BL1_BS1_CLR0_DTLA0_DTLB0_DTVA0_DVO0_EPS0_FL0_GLVWA2_GLVWB2_GRVW2_GSU55_GSUASB_GLS1_ISA90a_IU2_K1_KLA_LBSPPA0_LBSPPB0_LPA0_LPB0_LDL1_LRVW1_LDW0_MAC_MIAV0_MMFGLC_NTA0_NTB0_NTC0_NTD0_NEPBS1_NLCA1_NLCB1_ONLL1_OPLV0_PK0_PAP0_PGR2_PLR5_SIA3_SS1_SU0_SUM0_SUS0_SCIUI1_SPO1_SRVW0_SSO6_SVW2_SNLL0_TT4_16_TLDS0_UMLDSA0_UMLDSB0_USFGROn1_VAW1_VSn1_VW2_VWB1_VFLRP0_WSGRA0_WSGRB0_WG32_4_1_WGM11:

/******************************************/
/* Asm syntax workarounds                 */
/******************************************/
.macro _v_add_co_u32 dst:req, cc:req, src0:req, src1:req, dpp=
   v_add_co_u32 \dst, \cc, \src0, \src1 \dpp
.endm

.macro _v_add_u32 dst:req, src0:req, src1:req, dpp=
   v_add_u32 \dst, \src0, \src1 \dpp
.endm

.macro _v_add_i32 dst:req, src0:req, src1:req, dpp=
   v_add_i32 \dst, \src0, \src1 \dpp
.endm

.macro _v_addc_co_u32 dst:req, ccOut:req, src0:req, ccIn:req, src1:req, dpp=
   v_addc_co_u32 \dst, \ccOut, \src0, \ccIn, \src1 \dpp
.endm

.macro _v_sub_co_u32 dst:req, cc:req, src0:req, src1:req, dpp=
   v_sub_co_u32 \dst, \cc, \src0, \src1 \dpp
.endm

.macro _v_sub_u32 dst:req, src0:req, src1:req, dpp=
   v_sub_u32 \dst, \src0, \src1 \dpp
.endm

.macro _v_sub_i32 dst:req, src0:req, src1:req, dpp=
   v_sub_i32 \dst, \src0, \src1 \dpp
.endm

.macro _v_add_lshl_u32 dst:req, src0:req, src1:req, shiftCnt:req
    v_add_lshl_u32 \dst, \src0, \src1, \shiftCnt
.endm

.macro _v_lshl_add_u32 dst:req, src0:req, src1:req, shiftCnt:req
    v_lshl_add_u32 \dst, \src0, \src1, \shiftCnt
.endm

.macro _v_lshl_or_b32 dst:req, src0:req, shiftCnt:req, src1:req
    v_lshl_or_b32 \dst, \src0, \shiftCnt, \src1
.endm

.macro _v_dot2acc_f32_f16 dst, src0, src1
v_dot2c_f32_f16 \dst, \src0, \src1
.endm

.macro _v_cmpx_lt_i16 dst, src0, src1=
   v_cmpx_lt_i16 \dst, \src0, \src1 
.endm

.macro _v_cmpx_lt_i32 dst, src0, src1=
   v_cmpx_lt_i32 \dst, \src0, \src1 
.endm

.macro _v_cmpx_lt_i64 dst, src0, src1=
   v_cmpx_lt_i64 \dst, \src0, \src1 
.endm

.macro _v_cmpx_lt_u16 dst, src0, src1=
   v_cmpx_lt_u16 \dst, \src0, \src1 
.endm

.macro _v_cmpx_lt_u32 dst, src0, src1=
   v_cmpx_lt_u32 \dst, \src0, \src1 
.endm

.macro _v_cmpx_lt_u64 dst, src0, src1=
   v_cmpx_lt_u64 \dst, \src0, \src1 
.endm

.macro _v_cmpx_eq_i16 dst, src0, src1=
   v_cmpx_eq_i16 \dst, \src0, \src1 
.endm

.macro _v_cmpx_eq_i32 dst, src0, src1=
   v_cmpx_eq_i32 \dst, \src0, \src1 
.endm

.macro _v_cmpx_eq_i64 dst, src0, src1=
   v_cmpx_eq_i64 \dst, \src0, \src1 
.endm

.macro _v_cmpx_eq_u16 dst, src0, src1=
   v_cmpx_eq_u16 \dst, \src0, \src1 
.endm

.macro _v_cmpx_eq_u32 dst, src0, src1=
   v_cmpx_eq_u32 \dst, \src0, \src1 
.endm

.macro _v_cmpx_eq_u64 dst, src0, src1=
   v_cmpx_eq_u64 \dst, \src0, \src1 
.endm

.macro _v_cmpx_le_i16 dst, src0, src1=
   v_cmpx_le_i16 \dst, \src0, \src1 
.endm

.macro _v_cmpx_le_i32 dst, src0, src1=
   v_cmpx_le_i32 \dst, \src0, \src1 
.endm

.macro _v_cmpx_le_i64 dst, src0, src1=
   v_cmpx_le_i64 \dst, \src0, \src1 
.endm

.macro _v_cmpx_le_u16 dst, src0, src1=
   v_cmpx_le_u16 \dst, \src0, \src1 
.endm

.macro _v_cmpx_le_u32 dst, src0, src1=
   v_cmpx_le_u32 \dst, \src0, \src1 
.endm

.macro _v_cmpx_le_u64 dst, src0, src1=
   v_cmpx_le_u64 \dst, \src0, \src1 
.endm

.macro _v_cmpx_gt_i16 dst, src0, src1=
   v_cmpx_gt_i16 \dst, \src0, \src1 
.endm

.macro _v_cmpx_gt_i32 dst, src0, src1=
   v_cmpx_gt_i32 \dst, \src0, \src1 
.endm

.macro _v_cmpx_gt_i64 dst, src0, src1=
   v_cmpx_gt_i64 \dst, \src0, \src1 
.endm

.macro _v_cmpx_gt_u16 dst, src0, src1=
   v_cmpx_gt_u16 \dst, \src0, \src1 
.endm

.macro _v_cmpx_gt_u32 dst, src0, src1=
   v_cmpx_gt_u32 \dst, \src0, \src1 
.endm

.macro _v_cmpx_gt_u64 dst, src0, src1=
   v_cmpx_gt_u64 \dst, \src0, \src1 
.endm

.macro _v_cmpx_ne_i16 dst, src0, src1=
   v_cmpx_ne_i16 \dst, \src0, \src1 
.endm

.macro _v_cmpx_ne_i32 dst, src0, src1=
   v_cmpx_ne_i32 \dst, \src0, \src1 
.endm

.macro _v_cmpx_ne_i64 dst, src0, src1=
   v_cmpx_ne_i64 \dst, \src0, \src1 
.endm

.macro _v_cmpx_ne_u16 dst, src0, src1=
   v_cmpx_ne_u16 \dst, \src0, \src1 
.endm

.macro _v_cmpx_ne_u32 dst, src0, src1=
   v_cmpx_ne_u32 \dst, \src0, \src1 
.endm

.macro _v_cmpx_ne_u64 dst, src0, src1=
   v_cmpx_ne_u64 \dst, \src0, \src1 
.endm

.macro _v_cmpx_lg_i16 dst, src0, src1=
   v_cmpx_lg_i16 \dst, \src0, \src1 
.endm

.macro _v_cmpx_lg_i32 dst, src0, src1=
   v_cmpx_lg_i32 \dst, \src0, \src1 
.endm

.macro _v_cmpx_lg_i64 dst, src0, src1=
   v_cmpx_lg_i64 \dst, \src0, \src1 
.endm

.macro _v_cmpx_lg_u16 dst, src0, src1=
   v_cmpx_lg_u16 \dst, \src0, \src1 
.endm

.macro _v_cmpx_lg_u32 dst, src0, src1=
   v_cmpx_lg_u32 \dst, \src0, \src1 
.endm

.macro _v_cmpx_lg_u64 dst, src0, src1=
   v_cmpx_lg_u64 \dst, \src0, \src1 
.endm

.macro _v_cmpx_ge_i16 dst, src0, src1=
   v_cmpx_ge_i16 \dst, \src0, \src1 
.endm

.macro _v_cmpx_ge_i32 dst, src0, src1=
   v_cmpx_ge_i32 \dst, \src0, \src1 
.endm

.macro _v_cmpx_ge_i64 dst, src0, src1=
   v_cmpx_ge_i64 \dst, \src0, \src1 
.endm

.macro _v_cmpx_ge_u16 dst, src0, src1=
   v_cmpx_ge_u16 \dst, \src0, \src1 
.endm

.macro _v_cmpx_ge_u32 dst, src0, src1=
   v_cmpx_ge_u32 \dst, \src0, \src1 
.endm

.macro _v_cmpx_ge_u64 dst, src0, src1=
   v_cmpx_ge_u64 \dst, \src0, \src1 
.endm

.macro _v_cmpx_o_i16 dst, src0, src1=
   v_cmpx_o_i16 \dst, \src0, \src1 
.endm

.macro _v_cmpx_o_i32 dst, src0, src1=
   v_cmpx_o_i32 \dst, \src0, \src1 
.endm

.macro _v_cmpx_o_i64 dst, src0, src1=
   v_cmpx_o_i64 \dst, \src0, \src1 
.endm

.macro _v_cmpx_o_u16 dst, src0, src1=
   v_cmpx_o_u16 \dst, \src0, \src1 
.endm

.macro _v_cmpx_o_u32 dst, src0, src1=
   v_cmpx_o_u32 \dst, \src0, \src1 
.endm

.macro _v_cmpx_o_u64 dst, src0, src1=
   v_cmpx_o_u64 \dst, \src0, \src1 
.endm

.macro _v_cmpx_u_i16 dst, src0, src1=
   v_cmpx_u_i16 \dst, \src0, \src1 
.endm

.macro _v_cmpx_u_i32 dst, src0, src1=
   v_cmpx_u_i32 \dst, \src0, \src1 
.endm

.macro _v_cmpx_u_i64 dst, src0, src1=
   v_cmpx_u_i64 \dst, \src0, \src1 
.endm

.macro _v_cmpx_u_u16 dst, src0, src1=
   v_cmpx_u_u16 \dst, \src0, \src1 
.endm

.macro _v_cmpx_u_u32 dst, src0, src1=
   v_cmpx_u_u32 \dst, \src0, \src1 
.endm

.macro _v_cmpx_u_u64 dst, src0, src1=
   v_cmpx_u_u64 \dst, \src0, \src1 
.endm
.macro _v_mac_f32 c:req, a:req, b:req
    v_mac_f32 \c, \a, \b
.endmacro

/* scale global load macros */
.macro _s_load_b32 dst base offset
    s_load_dword \dst \base \offset
.endm

.macro _s_load_b64 dst base offset
    s_load_dwordx2 \dst \base \offset
.endm

.macro _s_load_b128 dst base offset
    s_load_dwordx4 \dst \base \offset
.endm

.macro _s_load_b256 dst base offset
    s_load_dwordx8 \dst \base \offset
.endm

.macro _s_load_b512 dst base offset
    s_load_dwordx16 \dst \base \offset
.endm


/* ds operation macros */
.macro _ds_load_u8 dst src offset
    ds_read_u8 \dst \src \offset
.endm

.macro _ds_load_u8_d16_hi dst src offset
    ds_read_u8_d16_hi \dst \src \offset
.endm

.macro _ds_load_u16 dst src offset
    ds_read_u16 \dst \src \offset
.endm

.macro _ds_load_u16_d16_hi dst src offset
    ds_read_u16_d16_hi \dst \src \offset
.endm

.macro _ds_load_b32 dst src offset
    ds_read_b32 \dst \src \offset
.endm

.macro _ds_load_b64 dst src offset
    ds_read_b64 \dst \src \offset
.endm

.macro _ds_load_b128 dst src offset
    ds_read_b128 \dst \src \offset
.endm

.macro _ds_store_b8 dst src offset
    ds_write_b8 \dst \src \offset
.endm

.macro _ds_store_b8_d16_hi dst src offset
    ds_write_b8_d16_hi \dst \src \offset
.endm

.macro _ds_store_b16 dst src offset
    ds_write_b16 \dst \src \offset
.endm

.macro _ds_store_b16_d16_hi dst src offset
    ds_write_b16_d16_hi \dst \src \offset
.endm

.macro _ds_store_b32 dst src offset
    ds_write_b32 \dst \src \offset
.endm

.macro _ds_store_b64 dst src offset
    ds_write_b64 \dst \src \offset
.endm

.macro _ds_store_b128 dst src offset
    ds_write_b128 \dst \src \offset
.endm

.macro _ds_load2_b32 dst src offset1 offset2
    ds_read2_b32 \dst \src \offset1 \offset2
.endm

.macro _ds_load2_b64 dst src offset1 offset2
    ds_read2_b64 \dst \src \offset1 \offset2
.endm

.macro _ds_store2_b32 dst src offset1 offset2
    ds_write2_b32 \dst \src \offset1 \offset2
.endm

.macro _ds_store2_b64 dst src offset1 offset2
    ds_write2_b64 \dst \src \offset1 \offset2
.endm


/* buffer memory operation macros */
.macro _buffer_load_b32 dst voffset base soffset offen ioffset md0 md1 md2
    buffer_load_dword \dst \voffset \base \soffset \offen \ioffset \md0 \md1 \md2
.endm

.macro _buffer_load_b64 dst voffset base soffset offen ioffset md0 md1 md2
    buffer_load_dwordx2 \dst \voffset \base \soffset \offen \ioffset \md0 \md1 \md2
.endm

.macro _buffer_load_b96 dst voffset base soffset offen ioffset md0 md1 md2
    buffer_load_dwordx3 \dst \voffset \base \soffset \offen \ioffset \md0 \md1 \md2
.endm

.macro _buffer_load_b128 dst voffset base soffset offen ioffset md0 md1 md2
    buffer_load_dwordx4 \dst \voffset \base \soffset \offen \ioffset \md0 \md1 \md2
.endm

.macro _buffer_load_d16_b16 dst voffset base soffset offen ioffset md0 md1 md2
    buffer_load_short_d16 \dst \voffset \base \soffset \offen \ioffset \md0 \md1 \md2
.endm

.macro _buffer_load_d16_hi_b16 dst voffset base soffset offen ioffset md0 md1 md2
    buffer_load_short_d16_hi \dst \voffset \base \soffset \offen \ioffset \md0 \md1 \md2
.endm

.macro _buffer_load_d16_u8 dst voffset base soffset offen ioffset md0 md1 md2
    buffer_load_ubyte_d16 \dst \voffset \base \soffset \offen \ioffset \md0 \md1 \md2
.endm

.macro _buffer_load_d16_hi_u8 dst voffset base soffset offen ioffset md0 md1 md2
    buffer_load_ubyte_d16_hi \dst \voffset \base \soffset \offen \ioffset \md0 \md1 \md2
.endm

.macro _buffer_load_u16 dst voffset base soffset offen ioffset md0 md1 md2
    buffer_load_ushort \dst \voffset \base \soffset \offen \ioffset \md0 \md1 \md2
.endm

.macro _buffer_load_b32_dtl voffset base soffset offen ioffset md0 md1 md2
    buffer_load_dword \voffset \base \soffset \offen \ioffset \md0 \md1 \md2
.endm

.macro _buffer_load_b64_dtl voffset base soffset offen ioffset md0 md1 md2
    buffer_load_dwordx2 \voffset \base \soffset \offen \ioffset \md0 \md1 \md2
.endm

.macro _buffer_load_b128_dtl voffset base soffset offen ioffset md0 md1 md2
    buffer_load_dwordx4 \voffset \base \soffset \offen \ioffset \md0 \md1 \md2
.endm

.macro _buffer_load_u16_dtl voffset base soffset offen ioffset md0 md1 md2
    buffer_load_ushort \voffset \base \soffset \offen \ioffset \md0 \md1 \md2
.endm

.macro _buffer_store_b32 src voffset base soffset offen ioffset md0 md1 md2
    buffer_store_dword \src \voffset \base \soffset \offen \ioffset \md0 \md1 \md2
.endm

.macro _buffer_store_b64 src voffset base soffset offen ioffset md0 md1 md2
    buffer_store_dwordx2 \src \voffset \base \soffset \offen \ioffset \md0 \md1 \md2
.endm

.macro _buffer_store_b96 src voffset base soffset offen ioffset md0 md1 md2
    buffer_store_dwordx3 \src \voffset \base \soffset \offen \ioffset \md0 \md1 \md2
.endm

.macro _buffer_store_b128 src voffset base soffset offen ioffset md0 md1 md2
    buffer_store_dwordx4 \src \voffset \base \soffset \offen \ioffset \md0 \md1 \md2
.endm

.macro _buffer_store_b16 src voffset base soffset offen ioffset md0 md1 md2
    buffer_store_short \src \voffset \base \soffset \offen \ioffset \md0 \md1 \md2
.endm

.macro _buffer_store_d16_hi_b16 src voffset base soffset offen ioffset md0 md1 md2
    buffer_store_short_d16_hi \src \voffset \base \soffset \offen \ioffset \md0 \md1 \md2
.endm

.macro _buffer_store_b8 src voffset base soffset offen ioffset md0 md1 md2
    buffer_store_byte \src \voffset \base \soffset \offen \ioffset \md0 \md1 \md2
.endm

.macro _buffer_store_d16_hi_b8 src voffset base soffset offen ioffset md0 md1 md2
    buffer_store_byte_d16_hi \src \voffset \base \soffset \offen \ioffset \md0 \md1 \md2
.endm

.macro _buffer_atomic_cmpswap_b32 dst voffset base soffset offen ioffset md0 md1 md2
    buffer_atomic_cmpswap \dst \voffset \base \soffset \offen \ioffset \md0 \md1 \md2
.endm

.macro _buffer_atomic_cmpswap_b64 dst voffset base soffset offen ioffset md0 md1 md2
    buffer_atomic_cmpswap_x2 \dst \voffset \base \soffset \offen \ioffset \md0 \md1 \md2
.endm


/* buffer memory operation macros */
.macro _global_load_b32 dst base src ioffset md0 md1 md2
    global_load_dword \dst \base \src \ioffset \md0 \md1 \md2
.endm

.macro _global_load_b64 dst base src ioffset md0 md1 md2
    global_load_dwordx2 \dst \base \src \ioffset \md0 \md1 \md2
.endm

.macro _global_load_b96 dst base src ioffset md0 md1 md2
    global_load_dwordx3 \dst \base \src \ioffset \md0 \md1 \md2
.endm

.macro _global_load_b128 dst base src ioffset md0 md1 md2
    global_load_dwordx4 \dst \base \src \ioffset \md0 \md1 \md2
.endm

.macro _global_load_d16_b16 dst base src ioffset md0 md1 md2
    global_load_short_d16 \dst \base \src \ioffset \md0 \md1 \md2
.endm

.macro _global_load_d16_hi_b16 dst base src ioffset md0 md1 md2
    global_load_short_d16_hi \dst \base \src \ioffset \md0 \md1 \md2
.endm

.macro _global_load_d16_u8 dst base src ioffset md0 md1 md2
    global_load_ubyte_d16 \dst \base \src \ioffset \md0 \md1 \md2
.endm

.macro _global_load_d16_hi_u8 dst base src ioffset md0 md1 md2
    global_load_ubyte_d16_hi \dst \base \src \ioffset \md0 \md1 \md2
.endm

.macro _global_load_u16 dst base src ioffset md0 md1 md2
    global_load_ushort \dst \base \src \ioffset \md0 \md1 \md2
.endm

.macro _global_store_b32 base src src2 md0 md1 md2
    global_store_dword \base \src \src2 \md0 \md1 \md2
.endm

.macro _global_store_b64 base src src2 md0 md1 md2
    global_store_dwordx2 \base \src \src2 \md0 \md1 \md2
.endm

.macro _global_store_b96 base src src2 md0 md1 md2
    global_store_dwordx3 \base \src \src2 \md0 \md1 \md2
.endm

.macro _global_store_b128 base src src2 md0 md1 md2
    global_store_dwordx4 \base \src \src2 \md0 \md1 \md2
.endm

.macro _global_store_d16_b16 base src src2 md0 md1 md2
    global_store_short \base \src \src2 \md0 \md1 \md2
.endm

.macro _global_store_d16_hi_b16 base src src2 md0 md1 md2
    global_store_short_d16_hi \base \src \src2 \md0 \md1 \md2
.endm

.macro _global_store_d16_u8 base src src2 md0 md1 md2
    global_store_ubyte_d16 \base \src \src2 \md0 \md1 \md2
.endm

.macro _global_store_d16_hi_u8 base src src2 md0 md1 md2
    global_store_ubyte_d16_hi \base \src \src2 \md0 \md1 \md2
.endm

.macro _global_store_u16 base src src2 md0 md1 md2
    global_store_ushort \base \src \src2 \md0 \md1 \md2
.endm

.macro _global_atomic_cmpswap_b32 tmp base data src ioffset md
    global_atomic_cmpswap \tmp \base \data \src \ioffset \md
.endm

.macro _global_atomic_cmpswap_b64 tmp base data src ioffset md
    global_atomic_cmpswap_x2 \tmp \base \data \src \ioffset \md
.endm


/******************************************/
/* Magic div and mod functions            */
/******************************************/
.macro V_MAGIC_DIV dstIdx:req, dividend:req, magicNumber:req, magicShift:req, magicA:req
    v_mul_hi_u32 v[\dstIdx+1], \dividend, \magicNumber
    v_mul_lo_u32 v[\dstIdx+0], \dividend, \magicA
    _v_add_u32 v[\dstIdx+0], v[\dstIdx+0], v[\dstIdx+1]
    v_lshrrev_b32 v[\dstIdx+0], \magicShift, v[\dstIdx+0]
.endm

/******************************************/
/* VGPR Assignments                       */
/******************************************/
/* ValuC range: [0-0), serializedStore enabled */
.set vgprValuC, 0
/* ValuA/B   Xn=PLR buffer idx,  In=InnerUnroll idx */
.set vgprValuA_X0_I0, 0
.set vgprValuA_X0_I1, 8
.set vgprValuA_X1_I0, 16
.set vgprValuA_X1_I1, 24
.set vgprValuA_X2_I0, 32
.set vgprValuA_X2_I1, 40
.set vgprValuA_X3_I0, 48
.set vgprValuA_X3_I1, 56
.set vgprG2LA, 84
.set vgprValuB_X0_I0, 64
.set vgprValuB_X0_I1, 66
.set vgprValuB_X1_I0, 68
.set vgprValuB_X1_I1, 70
.set vgprValuB_X2_I0, 72
.set vgprValuB_X2_I1, 74
.set vgprValuB_X3_I0, 76
.set vgprValuB_X3_I1, 78
.set vgprG2LB, 148
.set vgprLocalWriteAddrA, 80
.set vgprLocalWriteAddrB, 81
.set vgprGlobalReadOffsetA, 82
.set vgprGlobalReadOffsetB, 83
.set vgprLocalReadAddrA, 156
.set vgprLocalReadAddrB, 157
.set vgprSerial, 158
/* Num VGPR=256 */
/* Num AccVGPR=32 */

/******************************************/
/* SGPR Assignments                       */
/******************************************/
.set sgprKernArgAddress, 0 // (2)
.set sgprWorkGroup0, 2 // (1)
.set sgprWorkGroup1, 3 // (1)
.set sgprWorkGroup2, 4 // (1)
.set sgprGSUSumIdx, 5 // (2)
.set sgprLoopCounterL, 7 // (1)
.set sgprOrigLoopCounter, 8 // (1)
.set sgprSrdA, 12 // (4)
.set sgprSrdB, 16 // (4)
.set sgprSrdD, 20 // (4)
.set sgprSrdC, 24 // (4)
.set sgprTensor2dSizeA, 28 // (2)
.set sgprTensor2dSizeB, 30 // (2)
.set sgprAddressD, 32 // (2)
.set sgprAddressC, 34 // (2)
.set sgprAddressA, 36 // (2)
.set sgprAddressB, 38 // (2)
.set sgprOffsetD, 40 // (2)
.set sgprOffsetC, 42 // (2)
.set sgprOffsetA, 44 // (2)
.set sgprOffsetB, 46 // (2)
.set sgprAlpha, 48 // (2)
.set sgprBeta, 50 // (2)
.set sgprStridesD, 52 // (2)
.set sgprStridesC, 54 // (2)
.set sgprStridesA, 56 // (2)
.set sgprStridesB, 58 // (2)
.set sgprSizesFree, 60 // (3)
.set sgprSizesSum, 63 // (1)
.set sgprNumWorkGroups0, 64 // (1)
.set sgprNumWorkGroups1, 65 // (1)
.set sgprNumFullBlocks, 66 // (1)
.set sgprWgmRemainder1, 67 // (1)
.set sgprMagicNumberWgmRemainder1, 68 // (1)
.set sgprShadowLimitA, 32 // (2)
.set sgprShadowLimitB, 34 // (2)
.set sgprGlobalReadIncsA, 9 // (1)
.set sgprGlobalReadIncsB, 36 // (1)
.set sgprScalarGlobalReadOffsetA, 69 // (15)
.set sgprScalarGlobalReadOffsetB, 37 // (1)
/* max SGPR=84 */

/* Size Assignments */
.set sgprSizeI, sgprSizesFree+0
.set sgprSizeJ, sgprSizesFree+1
.set sgprSizeK, sgprSizesFree+2
.set sgprSizeL, sgprSizesSum+0

/* Stride Assignments */
.set constStrideD0I, 1
.set sgprStrideD1J, sgprStridesD+0
.set sgprStrideDK, sgprStridesD+1
.set constStrideC0I, 1
.set sgprStrideC1J, sgprStridesC+0
.set sgprStrideCK, sgprStridesC+1
.set constStrideAL, 1
.set sgprStrideA0I, sgprStridesA+0
.set sgprStrideAK, sgprStridesA+1
.set constStrideBL, 1
.set sgprStrideB1J, sgprStridesB+0
.set sgprStrideBK, sgprStridesB+1

.set MT0, 128
.set MT1, 16
.set DepthU, 32
.set GSU, 55
.set BpeA, 8
.set BpeALog2, 3
.set BpeB, 8
.set BpeBLog2, 3
/* Number of elements to shift-left SRD */
.set SrdShiftLeftA, 2
.set SrdShiftLeftB, 2
/* 2GB limit - set offsets to -1 to exceed this and clamp */
.set BufferLimitA, 0xffffffff
.set BufferLimitB, 0xffffffff
.set BufferOOB, 0xfffff000

/******************************************/
/* Bits 127:96 of SRD.                    */
/* hex: 0x00020000                        */
/* dst_sel_x (3b): 0                      */
/* dst_sel_y (3b): 0                      */
/* dst_sel_z (3b): 0                      */
/* dst_sel_w (3b): 0                      */
/* num_format (3b): 0                     */
/* data_format (4b): 4                    */
/* user_vm_enable (1b): 0                 */
/* user_vm_mode (1b): 0                   */
/* index_stride (2b): 0                   */
/* add_tid_enable (1b): 0                 */
/* _unusedA (3b): 0                       */
/* nv (1b): 0                             */
/* _unusedB (2b): 0                       */
/* type (2b): 0                           */
/******************************************/
.set Srd127_96, 0x00020000

/* Global Offset A */
.macro GLOBAL_OFFSET_A vgprAddr:req vgprOffsetL:req vgprOffset0I:req vgprTmp:req
v_mul_lo_u32 v[\vgprTmp+0], s[sgprStrideA0I], v[\vgprOffset0I] // mul d1 lower
_v_add_co_u32 v[\vgprAddr+0], vcc, v[\vgprOffsetL], v[\vgprTmp+0] // accumulate K lower
_v_add_u32 v[\vgprAddr+0], 0x2, v[\vgprAddr+0]     // add prepad for pointer shift
v_lshlrev_b32 v[\vgprAddr+0], 0x3, v[\vgprAddr+0]  // offset *= bytes/element
.endm

/* Global Offset B */
.macro GLOBAL_OFFSET_B vgprAddr:req vgprOffsetL:req vgprOffset1J:req vgprTmp:req
v_mul_lo_u32 v[\vgprTmp+0], s[sgprStrideB1J], v[\vgprOffset1J] // mul d1 lower
_v_add_co_u32 v[\vgprAddr+0], vcc, v[\vgprOffsetL], v[\vgprTmp+0] // accumulate K lower
_v_add_u32 v[\vgprAddr+0], 0x2, v[\vgprAddr+0]     // add prepad for pointer shift
v_lshlrev_b32 v[\vgprAddr+0], 0x3, v[\vgprAddr+0]  // offset *= bytes/element
.endm

/******************************************/
/* Dynamic Scalar Divide: vQuotient=vDividend/vDivisor; vRemainder=vDividend%vDivisor; */
/******************************************/
.macro DYNAMIC_VECTOR_DIVIDE vQuotient vRemainder vDividend vDivisor vTmp0 vTmp1 sTmp
v_cvt_f32_u32 v[\vQuotient], v[\vDivisor]          // 
v_rcp_f32 v[\vQuotient], v[\vQuotient]             // 
v_mul_f32 v[\vQuotient], 0x4f800000, v[\vQuotient] // 
v_cvt_u32_f32 v[\vQuotient], v[\vQuotient]         // 
v_mul_lo_u32 v[\vRemainder], v[\vDivisor], v[\vQuotient] // 
v_mul_hi_u32 v[\vTmp0], v[\vDivisor], v[\vQuotient] // 
_v_sub_co_u32 v[\vTmp1], vcc, 0x0, v[\vRemainder]  // 
v_cmp_ne_i32 s[\sTmp:\sTmp+1], 0x0, v[\vTmp0]      // 
v_cndmask_b32 v[\vRemainder], v[\vTmp1], v[\vRemainder], s[\sTmp:\sTmp+1] // 
v_mul_hi_u32 v[\vRemainder], v[\vRemainder], v[\vQuotient] // 
_v_sub_co_u32 v[\vTmp0], vcc, v[\vQuotient], v[\vRemainder] // 
_v_add_co_u32 v[\vQuotient], vcc, v[\vQuotient], v[\vRemainder] // 
v_cndmask_b32 v[\vQuotient], v[\vQuotient], v[\vTmp0], s[\sTmp:\sTmp+1] // 
v_mul_hi_u32 v[\vQuotient], v[\vQuotient], v[\vDividend] // 
v_mul_lo_u32 v[\vRemainder], v[\vQuotient], v[\vDivisor] // 
_v_sub_co_u32 v[\vTmp0], vcc, v[\vDividend], v[\vRemainder] // 
v_cmp_ge_u32 s[\sTmp:\sTmp+1], v[\vDividend], v[\vRemainder] // 
_v_add_co_u32 v[\vRemainder], vcc, 0x1, v[\vQuotient] // 
_v_add_co_u32 v[\vTmp1], vcc, -1, v[\vQuotient]    // 
v_cmp_le_u32 vcc, v[\vDivisor], v[\vTmp0]          // 
s_and_b64 vcc, s[\sTmp:\sTmp+1], vcc               // 
v_cndmask_b32 v[\vQuotient], v[\vQuotient], v[\vRemainder], vcc // 
v_cndmask_b32 v[\vQuotient], v[\vTmp1], v[\vQuotient], s[\sTmp:\sTmp+1] // 
v_cmp_ne_i32 vcc, 0x0, v[\vDivisor]                // 
v_cndmask_b32 v[\vQuotient], -1, v[\vQuotient], vcc // final result
v_mul_lo_u32 v[\vRemainder], v[\vQuotient], v[\vDivisor] // 
_v_sub_co_u32 v[\vRemainder], vcc, v[\vDividend], v[\vRemainder] // final result
.endm


	;; [unrolled: 1-line block ×3, first 2 shown]
/******************************************/
/* Allocate Resources                     */
/******************************************/

Cijk_Alik_Bljk_DB_GB_MT128x16x32_MI16x16x4x1_SN_1LDSB1_APM1_AF0EM1_AF1EM1_AMAS3_ASGT_ASLT_ASAE01_ASCE01_ASEM1_BL1_BS1_CLR0_DTLA0_DTLB0_DTVA0_DVO0_EPS0_FL0_GLVWA2_GLVWB2_GRVW2_GSU55_GSUASB_GLS1_ISA90a_IU2_K1_KLA_LBSPPA0_LBSPPB0_LPA0_LPB0_LDL1_LRVW1_LDW0_MAC_MIAV0_MMFGLC_NTA0_NTB0_NTC0_NTD0_NEPBS1_NLCA1_NLCB1_ONLL1_OPLV0_PK0_PAP0_PGR2_PLR5_SIA3_SS1_SU0_SUM0_SUS0_SCIUI1_SPO1_SRVW0_SSO6_SVW2_SNLL0_TT4_16_TLDS0_UMLDSA0_UMLDSB0_USFGROn1_VAW1_VSn1_VW2_VWB1_VFLRP0_WSGRA0_WSGRB0_WG32_4_1_WGM11_preloaded: // Kernel start when preloading
s_setprio 3                                        // optimization store

/* Load Kernel Args */
_s_load_b512 s[28:43], s[sgprKernArgAddress:sgprKernArgAddress+1], 0x0 // 
_s_load_b512 s[44:59], s[sgprKernArgAddress:sgprKernArgAddress+1], 0x40 // 
_s_load_b256 s[60:67], s[sgprKernArgAddress:sgprKernArgAddress+1], 0x80 // 
_s_load_b32 s68, s[sgprKernArgAddress:sgprKernArgAddress+1], 0xa0 // 
s_mov_b32 m0, 0x9000                               // LDS clamp at 36864 bytes
v_mov_b32 v[vgprSerial], v0                        // thread serial id

/******************************************/
/* Local Read Addresses                   */
/******************************************/


/* local read addresses: tile assignments a/b */

/*lr0I*/
v_and_b32 v1, 63, v[vgprSerial]                    // 0. thread id in wave: wtid = tid % wavelength(64)
v_and_b32 v0, 15, v1                               // 1. N offset: nIdx = wtid % MI_N(16)
                                                   // 1. N offset: nOffset = nIdx * nStride(1) (multiplier is 1, do nothing)
                                                   // 2. block offset: bnIdx = bnIdx % num1DBlocks(1) is 0. do nothing
v_lshlrev_b32 v0, 0x1, v0                          // 4. apply VectorWidth: bnOffset = bnOffset * vw(2)
v_lshrrev_b32 v1, 4, v1                            // 5. K offset: kIdx = wtid / (MIN(16) * MIBB(1))
v_lshlrev_b32 v1, 0x7, v1                          // 5. K offset: lrKOffset = kIdx * mStride(128)
_v_add_u32 v0, v1, v0                              // 6. offset in wave: lrOffset = bnOffset + lrKOffset
v_lshrrev_b32 v2, 6, v[vgprSerial]                 // 7. wave offset in N dimen: wtid = tid / dividedForWaveId(64)
v_and_b32 v1, 1, v2                                // 7. wave offset in M dimen: wtid0 = wtid / num1DWaves(2)
v_lshlrev_b32 v1, 0x5, v1                          // 7. wave offset in M dimen: wOffset = wtid0 * W0Stride(32)
_v_add_u32 v0, v1, v0                              // 8. final local read offset: flrOffset = lrOffset + WOffset
/*lr1J*/
v_and_b32 v2, 63, v[vgprSerial]                    // 0. thread id in wave: wtid = tid % wavelength(64)
v_and_b32 v1, 15, v2                               // 1. N offset: nIdx = wtid % MI_N(16)
                                                   // 1. N offset: nOffset = nIdx * nStride(1) (multiplier is 1, do nothing)
                                                   // 2. block offset: bnIdx = bnIdx % num1DBlocks(1) is 0. do nothing
                                                   // 4. apply VectorWidth: bnOffset = bnOffset * vw(1) (multiplier is 1, do nothing)
v_lshrrev_b32 v2, 4, v2                            // 5. K offset: kIdx = wtid / (MIN(16) * MIBB(1))
v_lshlrev_b32 v2, 0x4, v2                          // 5. K offset: lrKOffset = kIdx * mStride(16)
_v_add_u32 v1, v2, v1                              // 6. offset in wave: lrOffset = bnOffset + lrKOffset


/* local read addresses: final offsets a */

v_lshlrev_b32 v[vgprLocalReadAddrA], 0x3, v0       // Final Offset: offset = (lro0)*bpe


/* local read addresses: final offsets b */

v_lshlrev_b32 v[vgprLocalReadAddrB], 0x3, v1       // Final Offset: offset = (lro1)*bpe


/* local read addresses: declare addresses a */

/* N/A */


/* local read addresses: declare addresses b */

_v_add_co_u32 v[vgprLocalReadAddrB+0], vcc, 0x8000, v[vgprLocalReadAddrB+0] //  += LdsOffsetB (lower)


/* global read addresses: tile offset assignment a */

/* LVCA = 16 */
/* v0 = (local)groA-tile = serial/LVCA (note (wgA*MTA) will be added to SRD) */
/* v1 = groA-unroll = serial%LVCA */
v_lshrrev_b32 v0, 4, v[vgprSerial]                 // v0 = v[vgprSerial] / 16
v_and_b32 v1, 15, v[vgprSerial]                    // v1 = v[vgprSerial] % 16
/* gro-unroll *= glvw */
v_lshlrev_b32 v1, 0x1, v1                          // v1 = v1 * 2
v_mov_b32 v2, v1                                   // copy for GlobalSplitU


/* global read addresses: tile offset assignment b */

/* LVCB = 16 */
/* v3 = (local)groB-tile = serial/LVCB (note (wgB*MTB) will be added to SRD) */
/* v4 = groB-unroll = serial%LVCB */
v_lshrrev_b32 v3, 4, v[vgprSerial]                 // v3 = v[vgprSerial] / 16
v_and_b32 v4, 15, v[vgprSerial]                    // v4 = v[vgprSerial] % 16
/* gro-unroll *= glvw */
v_lshlrev_b32 v4, 0x1, v4                          // v4 = v4 * 2
v_mov_b32 v5, v4                                   // copy for GlobalSplitU


/******************************************/
/* Local Write Addresses                  */
/******************************************/

/* lwaTileAssignmentA = v0 */

/* lwaTileAssignmentB = v3 */

/* lwaUnrollAssignmentA = v2 */

/* lwaUnrollAssignmentB = v5 */


/* local write addresses: first offset a */

v_mul_u32_u24 v[vgprLocalWriteAddrA], 0x80, v2     // lwAL**(MTA + PAD)
_v_add_lshl_u32 v[vgprLocalWriteAddrA], v0, v[vgprLocalWriteAddrA], 0x3 // lwFOA = (lwAA + lwAL*(MT0I+PAD))*bpe


/* local write addresses: first offset b */

v_mul_u32_u24 v[vgprLocalWriteAddrB], 0x10, v5     // lwBL**(MTB + PAD)
_v_add_lshl_u32 v[vgprLocalWriteAddrB], v3, v[vgprLocalWriteAddrB], 0x3 // lwFOB = (lwBB + lwBL*(MT1J+PAD))*bpe
_v_add_co_u32 v[vgprLocalWriteAddrB], vcc, 0x8000, v[vgprLocalWriteAddrB] // lwFOB = lwB1J + lwBL*MT1J + LDS_OFFSET_B=4096*8







s_waitcnt lgkmcnt(0)                               // wait for 164 bytes of kern args

s_mul_i32 s70, s[sgprWorkGroup2], 8                // offset of global buffer address
_s_load_b64 s[sgprAddressD:sgprAddressD+1], s[sgprAddressD:sgprAddressD+1], s70 // load global buffer D address
v_cmp_eq_f64 vcc, s[sgprBeta:sgprBeta+1], 0.0      // Beta == 0.0 ?
s_cbranch_vccnz label_skip_c_buffer_deref_WorkGroup2_10 // branch if Beta == 0
s_mul_i32 s70, s[sgprWorkGroup2], 8                // offset of global buffer address
_s_load_b64 s[sgprAddressC:sgprAddressC+1], s[sgprAddressC:sgprAddressC+1], s70 // load global buffer C address
label_skip_c_buffer_deref_WorkGroup2_10: // 
s_mov_b32 s70, 0x1                                 // check summation size
s_mul_i32 s70, s[sgprSizesSum+0], s70              // check summation size
s_cmp_eq_u32 s70, 0x0                              // skip buffer deref is size of summation is 0
s_cbranch_scc1 label_skip_ab_buffer_deref_WorkGroup2_11 // skip buffer deref is size of summation is 0
v_cmp_eq_f64 vcc, s[sgprAlpha:sgprAlpha+1], 0.0    // Alpha == 0.0 ?
s_cbranch_vccnz label_skip_ab_buffer_deref_WorkGroup2_11 // branch if Alpha == 0
s_mul_i32 s70, s[sgprWorkGroup2], 8                // offset of global buffer address
_s_load_b64 s[sgprAddressA:sgprAddressA+1], s[sgprAddressA:sgprAddressA+1], s70 // load global buffer A address
_s_load_b64 s[sgprAddressB:sgprAddressB+1], s[sgprAddressB:sgprAddressB+1], s70 // load global buffer B address
label_skip_ab_buffer_deref_WorkGroup2_11: // 
s_waitcnt lgkmcnt(0)                               // wait global buffer address ready
s_lshl_b64 s[sgprOffsetD:sgprOffsetD+1], s[sgprOffsetD:sgprOffsetD+1], 0x3 // elements offset to bytes offset
s_add_u32 s[sgprSrdD+0], s[sgprAddressD+0], s[sgprOffsetD] // add offset to buffer address
s_addc_u32 s[sgprSrdD+1], s[sgprAddressD+1], s[sgprOffsetD+1] // add offset to buffer address
s_lshl_b64 s[sgprOffsetC:sgprOffsetC+1], s[sgprOffsetC:sgprOffsetC+1], 0x3 // elements offset to bytes offset
s_add_u32 s[sgprSrdC+0], s[sgprAddressC+0], s[sgprOffsetC] // add offset to buffer address
s_addc_u32 s[sgprSrdC+1], s[sgprAddressC+1], s[sgprOffsetC+1] // add offset to buffer address
s_lshl_b64 s[sgprOffsetA:sgprOffsetA+1], s[sgprOffsetA:sgprOffsetA+1], 0x3 // elements offset to bytes offset
s_add_u32 s[sgprSrdA+0], s[sgprAddressA+0], s[sgprOffsetA] // add offset to buffer address
s_addc_u32 s[sgprSrdA+1], s[sgprAddressA+1], s[sgprOffsetA+1] // add offset to buffer address
s_lshl_b64 s[sgprOffsetB:sgprOffsetB+1], s[sgprOffsetB:sgprOffsetB+1], 0x3 // elements offset to bytes offset
s_add_u32 s[sgprSrdB+0], s[sgprAddressB+0], s[sgprOffsetB] // add offset to buffer address
s_addc_u32 s[sgprSrdB+1], s[sgprAddressB+1], s[sgprOffsetB+1] // add offset to buffer address
s_sub_u32 s[sgprSrdA+0], s[sgprSrdA+0], 16         // pre-pad to make room for possible pointer shift
s_subb_u32 s[sgprSrdA+1], s[sgprSrdA+1], 0         // pre-pad to make room for possible pointer shift
s_sub_u32 s[sgprSrdB+0], s[sgprSrdB+0], 16         // pre-pad to make room for possible pointer shift
s_subb_u32 s[sgprSrdB+1], s[sgprSrdB+1], 0         // pre-pad to make room for possible pointer shift

.set OffsetD, UNDEF
.set OffsetC, UNDEF
.set OffsetA, UNDEF
.set OffsetB, UNDEF
.set AddressD, UNDEF
.set AddressC, UNDEF
.set AddressA, UNDEF
.set AddressB, UNDEF

/* Short circuit condition if Alpha == 0, then sumDims=0 */
v_cmp_eq_f64 vcc, s[sgprAlpha:sgprAlpha+1], 0.0    // Alpha == 0.0 ?
s_cbranch_vccz label_AlphaNonZero                  // branch if Alpha != 0
s_mov_b32 s[sgprSizesSum+0], 0x0                   // Set summation dim=0 if Alpha == 0
label_AlphaNonZero:



/******************************************/
/* Begin setupNewTile, isPap=False           */
/******************************************/


/* global read addresses: work-group */

/* graWorkGroup mapping */
// GSU-not-WGMapRR :nwg1 = (size1J + MT1J - 1) / MT1J;
s_mov_b32 s40, s[sgprWorkGroup1]                   // copying for divisor
s_mov_b32 s39, 0x0                                 // STATIC_DIV: divisior=55
s_mul_i32 s38, 0x94f, s40                          // tmp1 = dividend * magic hi
s_lshl_b64 s[38:39], s[38:39], 0x10                // left shift 16 bits
s_mul_i32 s[sgprWorkGroup1], s40, 0x2095           // tmp0 = dividend * magic lo
s_add_u32 s38, s[sgprWorkGroup1], s38              // add lo
s_addc_u32 s39, s39, 0x0                           // add hi
s_lshr_b64 s[38:39], s[38:39], 0x21                // tmp1 = (dividend * magic) << shift
s_mov_b32 s[sgprWorkGroup1], s38                   // quotient
s_mul_i32 s38, s[sgprWorkGroup1], 0x37             // quotient*divisor
s_sub_u32 s[sgprGSUSumIdx], s40, s38               // rReg = dividend - quotient*divisor
s_mov_b32 s41, 0xba2e8bbL                          // magic number for WGM==11
s_mul_hi_u32 s39, s[sgprWorkGroup1], s41           // s_magic mul
s_mul_i32 s38, s[sgprWorkGroup1], s41              // s_magic mul
s_lshr_b64 s[38:39], s[38:39], 31                  // sMagicDiv
s_mul_i32 s39, s38, 11                             // quotient * non-magic divisor
s_sub_u32 s39, s[sgprWorkGroup1], s39              // WorkGroup1=remainder
s_mul_i32 s39, s39, s[sgprNumWorkGroups0]          // (wg1 % WGM)*nwg0
s_add_u32 s39, s39, s[sgprWorkGroup0]              // wgSerial = wg0 + (wg1 % WGM)*nwg1
s_cmp_ge_u32 s38, s[sgprNumFullBlocks]             // blockId >= numFullBlocks ?
s_cmov_b32 s41, s[sgprMagicNumberWgmRemainder1]    // 
s_cselect_b32 s40, s[sgprWgmRemainder1], 11        // 
s_mul_hi_u32 s3, s39, s41                          // s_magic mul
s_mul_i32 s2, s39, s41                             // s_magic mul
s_lshr_b64 s[2:3], s[2:3], 31                      // sMagicDiv
s_mul_i32 s[sgprWorkGroup1], s[sgprWorkGroup0], s40 // quotient * non-magic divisor
s_sub_u32 s[sgprWorkGroup1], s39, s[sgprWorkGroup1] // WorkGroup1=remainder
s_mul_i32 s38, s38, 11                             // blockId * WGM
s_add_u32 s[sgprWorkGroup1], s[sgprWorkGroup1], s38 // wg1 += blockId * WGM


/* global read addresses: unroll assignment a */

/* v1 */


/* global read addresses: unroll assignment b */

/* v4 */


/* global read addresses: other free assignments */

/* s[sgprWorkGroup2] */


/* global read addresses: tile offsets a */


	;; [unrolled: 1-line block ×3, first 2 shown]
/* global read addresses: tile offsets b */


	;; [unrolled: 1-line block ×3, first 2 shown]
/* global read addresses: unroll offsets a */


	;; [unrolled: 1-line block ×3, first 2 shown]
/* global read addresses: unroll offsets b */



/* global read addresses: final offsets a */

GLOBAL_OFFSET_A vgprGlobalReadOffsetA+0,  1,  0, 6 // gROA_0_0_0_0
s_mul_i32 s[sgprScalarGlobalReadOffsetA+0], s[sgprStrideA0I], 8 // compute offset diff (scaled tileDim)
s_lshl_b32 s[sgprScalarGlobalReadOffsetA+0], s[sgprScalarGlobalReadOffsetA+0], 0x3 // scalar offset *= bytes/element
s_mul_i32 s[sgprScalarGlobalReadOffsetA+1], s[sgprStrideA0I], 16 // compute offset diff (scaled tileDim)
s_lshl_b32 s[sgprScalarGlobalReadOffsetA+1], s[sgprScalarGlobalReadOffsetA+1], 0x3 // scalar offset *= bytes/element
	;; [unrolled: 2-line block ×15, first 2 shown]


/* global read addresses: final offsets b */

GLOBAL_OFFSET_B vgprGlobalReadOffsetB+0,  4,  3, 6 // gROB_0_0_0_0
s_mul_i32 s[sgprScalarGlobalReadOffsetB+0], s[sgprStrideB1J], 8 // compute offset diff (scaled tileDim)
s_lshl_b32 s[sgprScalarGlobalReadOffsetB+0], s[sgprScalarGlobalReadOffsetB+0], 0x3 // scalar offset *= bytes/element


/* global read addresses: addresses a */

/* max read offset = size[n] * stride[n-1] */
s_mul_hi_u32 s41, s[sgprWorkGroup0], 128           // WorkGroup[01] * MT
s_mul_i32 s40, s[sgprWorkGroup0], 128              // WorkGroup[01] * MT
s_mul_hi_u32 s41, s40, s[sgprStrideA0I]            // tlu=0, scaled tile-offset by stride
s_mul_i32 s40, s40, s[sgprStrideA0I]               // tlu=0, scaled tile-offset by stride
s_mul_hi_u32 s39, 32, s[sgprGSUSumIdx]             // gsuOffset = DepthU*bpe*GSUSumIdx
s_mul_i32 s38, 32, s[sgprGSUSumIdx]                // gsuOffset = DepthU*bpe*GSUSumIdx
s_add_u32 s40, s40, s38                            // accum GsuOffset term to tilestart
s_addc_u32 s41, s41, s39                           // accum GsuOffset term to tilestart
s_sub_u32 s[sgprShadowLimitA+0], s[sgprTensor2dSizeA], s40 // sub tileStart
s_subb_u32 s[sgprShadowLimitA+1], s[sgprTensor2dSizeA+1], s41 // sub tileStart
s_lshl_b64 s[sgprShadowLimitA:sgprShadowLimitA+1], s[sgprShadowLimitA:sgprShadowLimitA+1], 0x3 // Set limit to use bytes
s_add_u32 s[sgprShadowLimitA+0], s[sgprShadowLimitA+0], 16 // extend limit for pre-pad
s_addc_u32 s[sgprShadowLimitA+1], s[sgprShadowLimitA+1], 0 // extend limit for pre-pad
s_cmp_eq_u32 s[sgprShadowLimitA+1], 0              // are we within 2^32?
s_cselect_b32 s[sgprSrdA+2], s[sgprShadowLimitA+0], BufferLimitA // Move shadow to real if we are within 2^32
s_lshl_b64 s[40:41], s[40:41], 0x3                 // tileStart *= BPE
s_add_u32 s[sgprSrdA+0], s[sgprSrdA+0], s40        // SRD base = Address+ tileStart0
s_addc_u32 s[sgprSrdA+1], s[sgprSrdA+1], s41       // SRD base = Address+ tileStart1
s_mov_b32 s[sgprSrdA+3], Srd127_96                 // Set bits 127_96 in SRD


/* global read addresses: addresses b */

/* max read offset = size[n] * stride[n-1] */
s_mul_hi_u32 s41, s[sgprWorkGroup1], 16            // WorkGroup[01] * MT
s_mul_i32 s40, s[sgprWorkGroup1], 16               // WorkGroup[01] * MT
s_mul_hi_u32 s41, s40, s[sgprStrideB1J]            // tlu=0, scaled tile-offset by stride
s_mul_i32 s40, s40, s[sgprStrideB1J]               // tlu=0, scaled tile-offset by stride
s_mul_hi_u32 s39, 32, s[sgprGSUSumIdx]             // gsuOffset = DepthU*bpe*GSUSumIdx
s_mul_i32 s38, 32, s[sgprGSUSumIdx]                // gsuOffset = DepthU*bpe*GSUSumIdx
s_add_u32 s40, s40, s38                            // accum GsuOffset term to tilestart
s_addc_u32 s41, s41, s39                           // accum GsuOffset term to tilestart
s_sub_u32 s[sgprShadowLimitB+0], s[sgprTensor2dSizeB], s40 // sub tileStart
s_subb_u32 s[sgprShadowLimitB+1], s[sgprTensor2dSizeB+1], s41 // sub tileStart
s_lshl_b64 s[sgprShadowLimitB:sgprShadowLimitB+1], s[sgprShadowLimitB:sgprShadowLimitB+1], 0x3 // Set limit to use bytes
s_add_u32 s[sgprShadowLimitB+0], s[sgprShadowLimitB+0], 16 // extend limit for pre-pad
s_addc_u32 s[sgprShadowLimitB+1], s[sgprShadowLimitB+1], 0 // extend limit for pre-pad
s_cmp_eq_u32 s[sgprShadowLimitB+1], 0              // are we within 2^32?
s_cselect_b32 s[sgprSrdB+2], s[sgprShadowLimitB+0], BufferLimitB // Move shadow to real if we are within 2^32
s_lshl_b64 s[40:41], s[40:41], 0x3                 // tileStart *= BPE
s_add_u32 s[sgprSrdB+0], s[sgprSrdB+0], s40        // SRD base = Address+ tileStart0
s_addc_u32 s[sgprSrdB+1], s[sgprSrdB+1], s41       // SRD base = Address+ tileStart1
s_mov_b32 s[sgprSrdB+3], Srd127_96                 // Set bits 127_96 in SRD


/* global read addresses: increments a */

s_mov_b32 s[sgprGlobalReadIncsA+0], DepthU*BpeA*55 // incrA (unrollIdx)


/* global read addresses: increments b */

s_mov_b32 s[sgprGlobalReadIncsB+0], DepthU*BpeB*55 // incrB (unrollIdx)

/* declare loop num iterations */


s_lshr_b32 s[sgprLoopCounterL], s[sgprSizesSum+0], 5 // s[sgprLoopCounterL] = s[sgprSizesSum+0] / 32
v_mov_b32 v2, s[sgprLoopCounterL]                  // copy for divide IterGsu
s_mov_b32 s38, 0x94f2095                           // v0 = v2 / 55
v_mul_hi_u32 v0, v2, s38                           // v0 = v2 / 55
v_lshrrev_b32 v0, 0x1, v0                          // v0 = v2 / 55
s_mov_b32 s38, 0x37                                // v1 = v2 % 55
v_mul_lo_u32 v1, v0, s38                           // v1 = v2 % 55
_v_sub_u32 v1, v2, v1                              // v1 = v2 % 55
v_readfirstlane_b32 s[sgprLoopCounterL], v0        // 
v_readfirstlane_b32 s[sgprGSUSumIdx+1], v1         // 
s_add_u32 s38, 1, s[sgprLoopCounterL]              // tmp<-numIterMyWg+
s_cmp_lt_u32 s[sgprGSUSumIdx], s[sgprGSUSumIdx+1]  // gsuSumIdx < numIterPerWgRemainder
s_cmov_b32 s[sgprLoopCounterL], s38                // numIterMyWg++ if needed
s_mov_b32 s[sgprOrigLoopCounter], s[sgprLoopCounterL] // copy loop counter

/* local read addresses: init pointers a */


/* localReadInitPointers */

/* local read addresses: init pointers b */


/* localReadInitPointers */


/* prefetch: global -> local */

s_cmp_eq_u32 s[sgprLoopCounterL], 0                // at last iteration?
s_setprio 0                                        // optimization store
s_cbranch_scc1 ShadowInitStart_12                  // skip to ShadowInitStart iter b/c numIter==0


_buffer_load_b128 v[vgprG2LA+0:vgprG2LA+0+3], v[vgprGlobalReadOffsetA+0], s[sgprSrdA:sgprSrdA+3], 0, offen offset:0 // G -> Reg 0_0_0_0
_buffer_load_b128 v[vgprG2LA+4:vgprG2LA+4+3], v[vgprGlobalReadOffsetA+0], s[sgprSrdA:sgprSrdA+3], s[sgprScalarGlobalReadOffsetA+0], offen offset:0 // G -> Reg 0_0_1_0
_buffer_load_b128 v[vgprG2LA+8:vgprG2LA+8+3], v[vgprGlobalReadOffsetA+0], s[sgprSrdA:sgprSrdA+3], s[sgprScalarGlobalReadOffsetA+1], offen offset:0 // G -> Reg 0_0_2_0
_buffer_load_b128 v[vgprG2LA+12:vgprG2LA+12+3], v[vgprGlobalReadOffsetA+0], s[sgprSrdA:sgprSrdA+3], s[sgprScalarGlobalReadOffsetA+2], offen offset:0 // G -> Reg 0_0_3_0
_buffer_load_b128 v[vgprG2LA+16:vgprG2LA+16+3], v[vgprGlobalReadOffsetA+0], s[sgprSrdA:sgprSrdA+3], s[sgprScalarGlobalReadOffsetA+3], offen offset:0 // G -> Reg 0_0_4_0
_buffer_load_b128 v[vgprG2LA+20:vgprG2LA+20+3], v[vgprGlobalReadOffsetA+0], s[sgprSrdA:sgprSrdA+3], s[sgprScalarGlobalReadOffsetA+4], offen offset:0 // G -> Reg 0_0_5_0
_buffer_load_b128 v[vgprG2LA+24:vgprG2LA+24+3], v[vgprGlobalReadOffsetA+0], s[sgprSrdA:sgprSrdA+3], s[sgprScalarGlobalReadOffsetA+5], offen offset:0 // G -> Reg 0_0_6_0
_buffer_load_b128 v[vgprG2LA+28:vgprG2LA+28+3], v[vgprGlobalReadOffsetA+0], s[sgprSrdA:sgprSrdA+3], s[sgprScalarGlobalReadOffsetA+6], offen offset:0 // G -> Reg 0_0_7_0
_buffer_load_b128 v[vgprG2LA+32:vgprG2LA+32+3], v[vgprGlobalReadOffsetA+0], s[sgprSrdA:sgprSrdA+3], s[sgprScalarGlobalReadOffsetA+7], offen offset:0 // G -> Reg 0_0_8_0
_buffer_load_b128 v[vgprG2LA+36:vgprG2LA+36+3], v[vgprGlobalReadOffsetA+0], s[sgprSrdA:sgprSrdA+3], s[sgprScalarGlobalReadOffsetA+8], offen offset:0 // G -> Reg 0_0_9_0
_buffer_load_b128 v[vgprG2LA+40:vgprG2LA+40+3], v[vgprGlobalReadOffsetA+0], s[sgprSrdA:sgprSrdA+3], s[sgprScalarGlobalReadOffsetA+9], offen offset:0 // G -> Reg 0_0_10_0
_buffer_load_b128 v[vgprG2LA+44:vgprG2LA+44+3], v[vgprGlobalReadOffsetA+0], s[sgprSrdA:sgprSrdA+3], s[sgprScalarGlobalReadOffsetA+10], offen offset:0 // G -> Reg 0_0_11_0
_buffer_load_b128 v[vgprG2LA+48:vgprG2LA+48+3], v[vgprGlobalReadOffsetA+0], s[sgprSrdA:sgprSrdA+3], s[sgprScalarGlobalReadOffsetA+11], offen offset:0 // G -> Reg 0_0_12_0
_buffer_load_b128 v[vgprG2LA+52:vgprG2LA+52+3], v[vgprGlobalReadOffsetA+0], s[sgprSrdA:sgprSrdA+3], s[sgprScalarGlobalReadOffsetA+12], offen offset:0 // G -> Reg 0_0_13_0
_buffer_load_b128 v[vgprG2LA+56:vgprG2LA+56+3], v[vgprGlobalReadOffsetA+0], s[sgprSrdA:sgprSrdA+3], s[sgprScalarGlobalReadOffsetA+13], offen offset:0 // G -> Reg 0_0_14_0
_buffer_load_b128 v[vgprG2LA+60:vgprG2LA+60+3], v[vgprGlobalReadOffsetA+0], s[sgprSrdA:sgprSrdA+3], s[sgprScalarGlobalReadOffsetA+14], offen offset:0 // G -> Reg 0_0_15_0


_buffer_load_b128 v[vgprG2LB+0:vgprG2LB+0+3], v[vgprGlobalReadOffsetB+0], s[sgprSrdB:sgprSrdB+3], 0, offen offset:0 // G -> Reg 0_0_0_0
_buffer_load_b128 v[vgprG2LB+4:vgprG2LB+4+3], v[vgprGlobalReadOffsetB+0], s[sgprSrdB:sgprSrdB+3], s[sgprScalarGlobalReadOffsetB+0], offen offset:0 // G -> Reg 0_0_1_0


/* global read inc A loopL */
s_add_u32 s[sgprSrdA+0], s[sgprSrdA+0], s[sgprGlobalReadIncsA+0] // gra SRD += inc(lower)
s_addc_u32  s[sgprSrdA+1], s[sgprSrdA+1], 0        // gra SRD += inc(upper)
s_sub_u32 s[sgprShadowLimitA+0], s[sgprShadowLimitA+0], s[sgprGlobalReadIncsA+0] // limit -= inc)
s_subb_u32 s[sgprShadowLimitA+1], s[sgprShadowLimitA+1], 0 // limit -= inc)
s_cmp_eq_u32 s[sgprShadowLimitA+1], 0              // are we within 2^32?
s_cmov_b32 s[sgprSrdA+2], s[sgprShadowLimitA+0]    // Move shadow to real if we are within 2^32

/* global read inc B loopL */
s_add_u32 s[sgprSrdB+0], s[sgprSrdB+0], s[sgprGlobalReadIncsB+0] // gra SRD += inc(lower)
s_addc_u32  s[sgprSrdB+1], s[sgprSrdB+1], 0        // gra SRD += inc(upper)
s_sub_u32 s[sgprShadowLimitB+0], s[sgprShadowLimitB+0], s[sgprGlobalReadIncsB+0] // limit -= inc)
s_subb_u32 s[sgprShadowLimitB+1], s[sgprShadowLimitB+1], 0 // limit -= inc)
s_cmp_eq_u32 s[sgprShadowLimitB+1], 0              // are we within 2^32?
s_cmov_b32 s[sgprSrdB+2], s[sgprShadowLimitB+0]    // Move shadow to real if we are within 2^32


/******************************************/
/* End setupNewTile, isPap=False             */
/******************************************/

ShadowInitStart_12: // 

s_mov_b32 s[sgprSrdD+2], BufferOOB                 // 
s_mov_b32 s[sgprSrdD+3], Srd127_96                 // Set bits 127_96 in post-loop SRD

s_mov_b32 s[sgprSrdC+2], BufferOOB                 // 
s_mov_b32 s[sgprSrdC+3], Srd127_96                 // Set bits 127_96 in post-loop SRD


s_mul_i32 s40, MT1, s[sgprWorkGroup1]              // <- wg1*MT1
s_mul_hi_u32 s39, s40, s[sgprStrideC1J]            // CScale s40 by Stride
s_mul_i32 s38, s40, s[sgprStrideC1J]               // CScale s40 by Stride
s_lshl_b64 s[38:39], s[38:39], 3                   // scale by bpe
s_add_u32 s[sgprSrdC+0], s[sgprSrdC+0], s38        // add lo to SRD
s_addc_u32 s[sgprSrdC+1], s[sgprSrdC+1], s39       // add hi to SRD
s_mul_hi_u32 s39, s40, s[sgprStrideD1J]            // Scale s40 by Stride
s_mul_i32 s38, s40, s[sgprStrideD1J]               // Scale s40 by Stride
s_lshl_b64 s[38:39], s[38:39], 3                   // scale by bpe
s_add_u32 s[sgprSrdD+0], s[sgprSrdD+0], s38        // add lo to SRD
s_addc_u32 s[sgprSrdD+1], s[sgprSrdD+1], s39       // add hi to SRD


	;; [unrolled: 1-line block ×3, first 2 shown]
/* initC: remove C-tile 0-0 from pool */

/* initC: remove AB-tile 0-80 from pool */
v_mov_b32 v159, 15728640                           // set out-of-bound addr
_ds_load_b32 acc0, v159, offset:0                  // initC
_ds_load_b32 acc1, v159, offset:0                  // initC
_ds_load_b32 acc2, v159, offset:0                  // initC
_ds_load_b32 acc3, v159, offset:0                  // initC
_ds_load_b32 acc4, v159, offset:0                  // initC
_ds_load_b32 acc5, v159, offset:0                  // initC
_ds_load_b32 acc6, v159, offset:0                  // initC
_ds_load_b32 acc7, v159, offset:0                  // initC
_ds_load_b32 acc8, v159, offset:0                  // initC
_ds_load_b32 acc9, v159, offset:0                  // initC
_ds_load_b32 acc10, v159, offset:0                 // initC
_ds_load_b32 acc11, v159, offset:0                 // initC
_ds_load_b32 acc12, v159, offset:0                 // initC
_ds_load_b32 acc13, v159, offset:0                 // initC
_ds_load_b32 acc14, v159, offset:0                 // initC
_ds_load_b32 acc15, v159, offset:0                 // initC
_ds_load_b32 acc16, v159, offset:0                 // initC
_ds_load_b32 acc17, v159, offset:0                 // initC
_ds_load_b32 acc18, v159, offset:0                 // initC
_ds_load_b32 acc19, v159, offset:0                 // initC
_ds_load_b32 acc20, v159, offset:0                 // initC
_ds_load_b32 acc21, v159, offset:0                 // initC
_ds_load_b32 acc22, v159, offset:0                 // initC
_ds_load_b32 acc23, v159, offset:0                 // initC
_ds_load_b32 acc24, v159, offset:0                 // initC
_ds_load_b32 acc25, v159, offset:0                 // initC
_ds_load_b32 acc26, v159, offset:0                 // initC
_ds_load_b32 acc27, v159, offset:0                 // initC
_ds_load_b32 acc28, v159, offset:0                 // initC
_ds_load_b32 acc29, v159, offset:0                 // initC
_ds_load_b32 acc30, v159, offset:0                 // initC
_ds_load_b32 acc31, v159, offset:0                 // initC

s_cmp_eq_u32 s[sgprLoopCounterL], 0                // at last iteration?

/* after InitC, skip to end of prefetch last iter if numIter==0 */
s_cbranch_scc0 label_NoBranch_13                   // Only branch on scc1
s_getpc_B64 s[38:39]                               // addr of next instr
s_add_i32 s40, PrefetchGlobalLastIterEnd_5, 0x4    // target branch offset
s_add_u32 s38, s38, s40                            // add target branch offset
s_addc_u32 s39, s39, 0                             // add high and carry
s_setpc_b64 s[38:39]                               // branch to PrefetchGlobalLastIterEnd_5
label_NoBranch_13:

s_waitcnt vmcnt(0)                                 // lgkmcnt=-1 vmcnt=0 8wait for global read


/* local write a */
_ds_store_b64 v[vgprLocalWriteAddrA], v[vgprG2LA+0:vgprG2LA+0+1] offset:0 // lwoA_0_0_0_0 = (0 + 0*LSCA)*(MT0I+PAD) + (0*LSPA) = 0
_ds_store_b64 v[vgprLocalWriteAddrA], v[vgprG2LA+2:vgprG2LA+2+1] offset:1024 // lwoA_0_1_0_0 = (1 + 0*LSCA)*(MT0I+PAD) + (0*LSPA) = 1024
_ds_store_b64 v[vgprLocalWriteAddrA], v[vgprG2LA+4:vgprG2LA+4+1] offset:64 // lwoA_0_0_1_0 = (0 + 0*LSCA)*(MT0I+PAD) + (1*LSPA) = 64
_ds_store_b64 v[vgprLocalWriteAddrA], v[vgprG2LA+6:vgprG2LA+6+1] offset:1088 // lwoA_0_1_1_0 = (1 + 0*LSCA)*(MT0I+PAD) + (1*LSPA) = 1088
_ds_store_b64 v[vgprLocalWriteAddrA], v[vgprG2LA+8:vgprG2LA+8+1] offset:128 // lwoA_0_0_2_0 = (0 + 0*LSCA)*(MT0I+PAD) + (2*LSPA) = 128
_ds_store_b64 v[vgprLocalWriteAddrA], v[vgprG2LA+10:vgprG2LA+10+1] offset:1152 // lwoA_0_1_2_0 = (1 + 0*LSCA)*(MT0I+PAD) + (2*LSPA) = 1152
_ds_store_b64 v[vgprLocalWriteAddrA], v[vgprG2LA+12:vgprG2LA+12+1] offset:192 // lwoA_0_0_3_0 = (0 + 0*LSCA)*(MT0I+PAD) + (3*LSPA) = 192
_ds_store_b64 v[vgprLocalWriteAddrA], v[vgprG2LA+14:vgprG2LA+14+1] offset:1216 // lwoA_0_1_3_0 = (1 + 0*LSCA)*(MT0I+PAD) + (3*LSPA) = 1216
_ds_store_b64 v[vgprLocalWriteAddrA], v[vgprG2LA+16:vgprG2LA+16+1] offset:256 // lwoA_0_0_4_0 = (0 + 0*LSCA)*(MT0I+PAD) + (4*LSPA) = 256
_ds_store_b64 v[vgprLocalWriteAddrA], v[vgprG2LA+18:vgprG2LA+18+1] offset:1280 // lwoA_0_1_4_0 = (1 + 0*LSCA)*(MT0I+PAD) + (4*LSPA) = 1280
_ds_store_b64 v[vgprLocalWriteAddrA], v[vgprG2LA+20:vgprG2LA+20+1] offset:320 // lwoA_0_0_5_0 = (0 + 0*LSCA)*(MT0I+PAD) + (5*LSPA) = 320
_ds_store_b64 v[vgprLocalWriteAddrA], v[vgprG2LA+22:vgprG2LA+22+1] offset:1344 // lwoA_0_1_5_0 = (1 + 0*LSCA)*(MT0I+PAD) + (5*LSPA) = 1344
_ds_store_b64 v[vgprLocalWriteAddrA], v[vgprG2LA+24:vgprG2LA+24+1] offset:384 // lwoA_0_0_6_0 = (0 + 0*LSCA)*(MT0I+PAD) + (6*LSPA) = 384
_ds_store_b64 v[vgprLocalWriteAddrA], v[vgprG2LA+26:vgprG2LA+26+1] offset:1408 // lwoA_0_1_6_0 = (1 + 0*LSCA)*(MT0I+PAD) + (6*LSPA) = 1408
_ds_store_b64 v[vgprLocalWriteAddrA], v[vgprG2LA+28:vgprG2LA+28+1] offset:448 // lwoA_0_0_7_0 = (0 + 0*LSCA)*(MT0I+PAD) + (7*LSPA) = 448
_ds_store_b64 v[vgprLocalWriteAddrA], v[vgprG2LA+30:vgprG2LA+30+1] offset:1472 // lwoA_0_1_7_0 = (1 + 0*LSCA)*(MT0I+PAD) + (7*LSPA) = 1472
_ds_store_b64 v[vgprLocalWriteAddrA], v[vgprG2LA+32:vgprG2LA+32+1] offset:512 // lwoA_0_0_8_0 = (0 + 0*LSCA)*(MT0I+PAD) + (8*LSPA) = 512
_ds_store_b64 v[vgprLocalWriteAddrA], v[vgprG2LA+34:vgprG2LA+34+1] offset:1536 // lwoA_0_1_8_0 = (1 + 0*LSCA)*(MT0I+PAD) + (8*LSPA) = 1536
_ds_store_b64 v[vgprLocalWriteAddrA], v[vgprG2LA+36:vgprG2LA+36+1] offset:576 // lwoA_0_0_9_0 = (0 + 0*LSCA)*(MT0I+PAD) + (9*LSPA) = 576
_ds_store_b64 v[vgprLocalWriteAddrA], v[vgprG2LA+38:vgprG2LA+38+1] offset:1600 // lwoA_0_1_9_0 = (1 + 0*LSCA)*(MT0I+PAD) + (9*LSPA) = 1600
_ds_store_b64 v[vgprLocalWriteAddrA], v[vgprG2LA+40:vgprG2LA+40+1] offset:640 // lwoA_0_0_10_0 = (0 + 0*LSCA)*(MT0I+PAD) + (10*LSPA) = 640
_ds_store_b64 v[vgprLocalWriteAddrA], v[vgprG2LA+42:vgprG2LA+42+1] offset:1664 // lwoA_0_1_10_0 = (1 + 0*LSCA)*(MT0I+PAD) + (10*LSPA) = 1664
_ds_store_b64 v[vgprLocalWriteAddrA], v[vgprG2LA+44:vgprG2LA+44+1] offset:704 // lwoA_0_0_11_0 = (0 + 0*LSCA)*(MT0I+PAD) + (11*LSPA) = 704
_ds_store_b64 v[vgprLocalWriteAddrA], v[vgprG2LA+46:vgprG2LA+46+1] offset:1728 // lwoA_0_1_11_0 = (1 + 0*LSCA)*(MT0I+PAD) + (11*LSPA) = 1728
_ds_store_b64 v[vgprLocalWriteAddrA], v[vgprG2LA+48:vgprG2LA+48+1] offset:768 // lwoA_0_0_12_0 = (0 + 0*LSCA)*(MT0I+PAD) + (12*LSPA) = 768
_ds_store_b64 v[vgprLocalWriteAddrA], v[vgprG2LA+50:vgprG2LA+50+1] offset:1792 // lwoA_0_1_12_0 = (1 + 0*LSCA)*(MT0I+PAD) + (12*LSPA) = 1792
_ds_store_b64 v[vgprLocalWriteAddrA], v[vgprG2LA+52:vgprG2LA+52+1] offset:832 // lwoA_0_0_13_0 = (0 + 0*LSCA)*(MT0I+PAD) + (13*LSPA) = 832
_ds_store_b64 v[vgprLocalWriteAddrA], v[vgprG2LA+54:vgprG2LA+54+1] offset:1856 // lwoA_0_1_13_0 = (1 + 0*LSCA)*(MT0I+PAD) + (13*LSPA) = 1856
_ds_store_b64 v[vgprLocalWriteAddrA], v[vgprG2LA+56:vgprG2LA+56+1] offset:896 // lwoA_0_0_14_0 = (0 + 0*LSCA)*(MT0I+PAD) + (14*LSPA) = 896
_ds_store_b64 v[vgprLocalWriteAddrA], v[vgprG2LA+58:vgprG2LA+58+1] offset:1920 // lwoA_0_1_14_0 = (1 + 0*LSCA)*(MT0I+PAD) + (14*LSPA) = 1920
_ds_store_b64 v[vgprLocalWriteAddrA], v[vgprG2LA+60:vgprG2LA+60+1] offset:960 // lwoA_0_0_15_0 = (0 + 0*LSCA)*(MT0I+PAD) + (15*LSPA) = 960
_ds_store_b64 v[vgprLocalWriteAddrA], v[vgprG2LA+62:vgprG2LA+62+1] offset:1984 // lwoA_0_1_15_0 = (1 + 0*LSCA)*(MT0I+PAD) + (15*LSPA) = 1984

/* local write b */
_ds_store_b64 v[vgprLocalWriteAddrB], v[vgprG2LB+0:vgprG2LB+0+1] offset:0 // lwoB_0_0_0_0 = (0 + 0*LSCB)*(MT1J+PAD) + (0*LSPB) = 0
_ds_store_b64 v[vgprLocalWriteAddrB], v[vgprG2LB+2:vgprG2LB+2+1] offset:128 // lwoB_0_1_0_0 = (1 + 0*LSCB)*(MT1J+PAD) + (0*LSPB) = 128
_ds_store_b64 v[vgprLocalWriteAddrB], v[vgprG2LB+4:vgprG2LB+4+1] offset:64 // lwoB_0_0_1_0 = (0 + 0*LSCB)*(MT1J+PAD) + (1*LSPB) = 64
_ds_store_b64 v[vgprLocalWriteAddrB], v[vgprG2LB+6:vgprG2LB+6+1] offset:192 // lwoB_0_1_1_0 = (1 + 0*LSCB)*(MT1J+PAD) + (1*LSPB) = 192


/* local write swap a */


	;; [unrolled: 1-line block ×3, first 2 shown]
/* local write swap b */


	;; [unrolled: 1-line block ×4, first 2 shown]
s_cmp_eq_u32 s[sgprLoopCounterL] 0x1               // PGR=2 but only 1 loop
s_cbranch_scc1 label_0014                          // PGR=2 but only 1 loop


_buffer_load_b128 v[vgprG2LA+0:vgprG2LA+0+3], v[vgprGlobalReadOffsetA+0], s[sgprSrdA:sgprSrdA+3], 0, offen offset:0 // G -> Reg 0_0_0_0
_buffer_load_b128 v[vgprG2LA+4:vgprG2LA+4+3], v[vgprGlobalReadOffsetA+0], s[sgprSrdA:sgprSrdA+3], s[sgprScalarGlobalReadOffsetA+0], offen offset:0 // G -> Reg 0_0_1_0
_buffer_load_b128 v[vgprG2LA+8:vgprG2LA+8+3], v[vgprGlobalReadOffsetA+0], s[sgprSrdA:sgprSrdA+3], s[sgprScalarGlobalReadOffsetA+1], offen offset:0 // G -> Reg 0_0_2_0
_buffer_load_b128 v[vgprG2LA+12:vgprG2LA+12+3], v[vgprGlobalReadOffsetA+0], s[sgprSrdA:sgprSrdA+3], s[sgprScalarGlobalReadOffsetA+2], offen offset:0 // G -> Reg 0_0_3_0
_buffer_load_b128 v[vgprG2LA+16:vgprG2LA+16+3], v[vgprGlobalReadOffsetA+0], s[sgprSrdA:sgprSrdA+3], s[sgprScalarGlobalReadOffsetA+3], offen offset:0 // G -> Reg 0_0_4_0
_buffer_load_b128 v[vgprG2LA+20:vgprG2LA+20+3], v[vgprGlobalReadOffsetA+0], s[sgprSrdA:sgprSrdA+3], s[sgprScalarGlobalReadOffsetA+4], offen offset:0 // G -> Reg 0_0_5_0
_buffer_load_b128 v[vgprG2LA+24:vgprG2LA+24+3], v[vgprGlobalReadOffsetA+0], s[sgprSrdA:sgprSrdA+3], s[sgprScalarGlobalReadOffsetA+5], offen offset:0 // G -> Reg 0_0_6_0
_buffer_load_b128 v[vgprG2LA+28:vgprG2LA+28+3], v[vgprGlobalReadOffsetA+0], s[sgprSrdA:sgprSrdA+3], s[sgprScalarGlobalReadOffsetA+6], offen offset:0 // G -> Reg 0_0_7_0
_buffer_load_b128 v[vgprG2LA+32:vgprG2LA+32+3], v[vgprGlobalReadOffsetA+0], s[sgprSrdA:sgprSrdA+3], s[sgprScalarGlobalReadOffsetA+7], offen offset:0 // G -> Reg 0_0_8_0
_buffer_load_b128 v[vgprG2LA+36:vgprG2LA+36+3], v[vgprGlobalReadOffsetA+0], s[sgprSrdA:sgprSrdA+3], s[sgprScalarGlobalReadOffsetA+8], offen offset:0 // G -> Reg 0_0_9_0
_buffer_load_b128 v[vgprG2LA+40:vgprG2LA+40+3], v[vgprGlobalReadOffsetA+0], s[sgprSrdA:sgprSrdA+3], s[sgprScalarGlobalReadOffsetA+9], offen offset:0 // G -> Reg 0_0_10_0
_buffer_load_b128 v[vgprG2LA+44:vgprG2LA+44+3], v[vgprGlobalReadOffsetA+0], s[sgprSrdA:sgprSrdA+3], s[sgprScalarGlobalReadOffsetA+10], offen offset:0 // G -> Reg 0_0_11_0
_buffer_load_b128 v[vgprG2LA+48:vgprG2LA+48+3], v[vgprGlobalReadOffsetA+0], s[sgprSrdA:sgprSrdA+3], s[sgprScalarGlobalReadOffsetA+11], offen offset:0 // G -> Reg 0_0_12_0
_buffer_load_b128 v[vgprG2LA+52:vgprG2LA+52+3], v[vgprGlobalReadOffsetA+0], s[sgprSrdA:sgprSrdA+3], s[sgprScalarGlobalReadOffsetA+12], offen offset:0 // G -> Reg 0_0_13_0
_buffer_load_b128 v[vgprG2LA+56:vgprG2LA+56+3], v[vgprGlobalReadOffsetA+0], s[sgprSrdA:sgprSrdA+3], s[sgprScalarGlobalReadOffsetA+13], offen offset:0 // G -> Reg 0_0_14_0
_buffer_load_b128 v[vgprG2LA+60:vgprG2LA+60+3], v[vgprGlobalReadOffsetA+0], s[sgprSrdA:sgprSrdA+3], s[sgprScalarGlobalReadOffsetA+14], offen offset:0 // G -> Reg 0_0_15_0


_buffer_load_b128 v[vgprG2LB+0:vgprG2LB+0+3], v[vgprGlobalReadOffsetB+0], s[sgprSrdB:sgprSrdB+3], 0, offen offset:0 // G -> Reg 0_0_0_0
_buffer_load_b128 v[vgprG2LB+4:vgprG2LB+4+3], v[vgprGlobalReadOffsetB+0], s[sgprSrdB:sgprSrdB+3], s[sgprScalarGlobalReadOffsetB+0], offen offset:0 // G -> Reg 0_0_1_0

label_0014:                                        // 

s_waitcnt lgkmcnt(0)                               // lgkmcnt=0 vmcnt=-10prefetch wait for local write

// Skip force waitcnt0
s_barrier //


/* local read prefetch a */

_ds_load_b64 v[vgprValuA_X0_I0+0:vgprValuA_X0_I0+0+1], v[vgprLocalReadAddrA] offset:0 // L -> Reg lro=0 swapByteOffset=0 ti=64 vIdx=0 rIdx=0 oIdx=0 buffer=0 iui=0
_ds_load_b64 v[vgprValuA_X0_I0+2:vgprValuA_X0_I0+2+1], v[vgprLocalReadAddrA] offset:8 // L -> Reg lro=0 swapByteOffset=0 ti=64 vIdx=0 rIdx=0 oIdx=0 buffer=0 iui=0
	;; [unrolled: 1-line block ×4, first 2 shown]


/* local read prefetch b */

_ds_load_b64 v[vgprValuB_X0_I0+0:vgprValuB_X0_I0+0+1], v[vgprLocalReadAddrB] offset:0 // L -> Reg lro=0 swapByteOffset=0 ti=16 vIdx=0 rIdx=0 oIdx=0 buffer=0 iui=0


/* local read inc a */

/* N/A, lro->512 */
/* self.localReadDoCntA 1 self.localReadDoCntB 1 */


/* local read inc b */

/* N/A, lro->64 */
/* self.localReadDoCntA 1 self.localReadDoCntB 1 */


/* local read prefetch a */

_ds_load_b64 v[vgprValuA_X0_I1+0:vgprValuA_X0_I1+0+1], v[vgprLocalReadAddrA] offset:4096 // L -> Reg lro=512 swapByteOffset=0 ti=64 vIdx=0 rIdx=0 oIdx=0 buffer=0 iui=1
_ds_load_b64 v[vgprValuA_X0_I1+2:vgprValuA_X0_I1+2+1], v[vgprLocalReadAddrA] offset:4104 // L -> Reg lro=512 swapByteOffset=0 ti=64 vIdx=0 rIdx=0 oIdx=0 buffer=0 iui=1
	;; [unrolled: 1-line block ×4, first 2 shown]


/* local read prefetch b */

_ds_load_b64 v[vgprValuB_X0_I1+0:vgprValuB_X0_I1+0+1], v[vgprLocalReadAddrB] offset:512 // L -> Reg lro=64 swapByteOffset=0 ti=16 vIdx=0 rIdx=0 oIdx=0 buffer=0 iui=1


/* local read inc a */

/* N/A, lro->1024 */
/* self.localReadDoCntA 2 self.localReadDoCntB 2 */


/* local read inc b */

/* N/A, lro->128 */
/* self.localReadDoCntA 2 self.localReadDoCntB 2 */


	;; [unrolled: 1-line block ×3, first 2 shown]
/******************************************/
/* Unrolled Loop(s) - Begin               */
/******************************************/

openLoopL_15:
s_cmp_eq_u32 s[sgprLoopCounterL], 0x1              // LoopCounterL < EndCounter
s_cbranch_scc1 label_0016                          // PGR=2 but only 1 loop, toPGR1
s_cmp_le_u32 s[sgprLoopCounterL], 0x2              // LoopCounterL < EndCounter
s_cbranch_scc1 LoopEndL_2                          // do not enter LoopL
LoopBeginL_1:


/******************************************/
/* Unrolled Loop 1/1 - Begin              */
/******************************************/

label_0017: // LoopCopy1 


/* Begin Each Unroll: Check VGPR.checkin for INT8 LW */


	;; [unrolled: 1-line block ×3, first 2 shown]
/* iter 0 */

/*  grEndMfmaIndex:4, lwStartMfmaIndex:19, lwEndMfmaIndex:22  */
/*  numMfmaForLR:7, barrierMfmaIndex:24, LocalWritePerMfma:5.735 */
/*  mfmaIndex:0  */
s_waitcnt lgkmcnt(0)                               // lgkmcnt=0 vmcnt=-1wait for prior local read local write old=0, new=0 newLW=0 newLR=0
v_mfma_f64_16x16x4f64 a[0+0:7+0], v[vgprValuB_X0_I0+0+0+0:vgprValuB_X0_I0+0+0+0+1], v[vgprValuA_X0_I0+0+0+0:vgprValuA_X0_I0+0+0+0+1], a[0:7]
/*  mfmaIndex:1  */
_ds_load_b64 v[vgprValuA_X1_I0+0:vgprValuA_X1_I0+0+1], v[vgprLocalReadAddrA] offset:8192 // L -> Reg lro=1024 swapByteOffset=0 ti=64 vIdx=0 rIdx=0 oIdx=0 buffer=1 iui=0
_ds_load_b64 v[vgprValuB_X1_I0+0:vgprValuB_X1_I0+0+1], v[vgprLocalReadAddrB] offset:1024 // L -> Reg lro=128 swapByteOffset=0 ti=16 vIdx=0 rIdx=0 oIdx=0 buffer=1 iui=0

/* global read inc A loopL */
s_add_u32 s[sgprSrdA+0], s[sgprSrdA+0], s[sgprGlobalReadIncsA+0] // gra SRD += inc(lower)
s_addc_u32  s[sgprSrdA+1], s[sgprSrdA+1], 0        // gra SRD += inc(upper)
s_sub_u32 s[sgprShadowLimitA+0], s[sgprShadowLimitA+0], s[sgprGlobalReadIncsA+0] // limit -= inc)
v_mfma_f64_16x16x4f64 a[8+0:15+0], v[vgprValuB_X0_I0+0+0+0:vgprValuB_X0_I0+0+0+0+1], v[vgprValuA_X0_I0+2+0+0:vgprValuA_X0_I0+2+0+0+1], a[8:15]
/*  mfmaIndex:2  */
_ds_load_b64 v[vgprValuA_X1_I0+2:vgprValuA_X1_I0+2+1], v[vgprLocalReadAddrA] offset:8200 // L -> Reg lro=1024 swapByteOffset=0 ti=64 vIdx=0 rIdx=0 oIdx=0 buffer=1 iui=0
_ds_load_b64 v[vgprValuA_X1_I0+4:vgprValuA_X1_I0+4+1], v[vgprLocalReadAddrA] offset:8704 // L -> Reg lro=1024 swapByteOffset=0 ti=64 vIdx=1 rIdx=0 oIdx=0 buffer=1 iui=0
s_subb_u32 s[sgprShadowLimitA+1], s[sgprShadowLimitA+1], 0 // limit -= inc)
s_cmp_eq_u32 s[sgprShadowLimitA+1], 0              // are we within 2^32?
s_cmov_b32 s[sgprSrdA+2], s[sgprShadowLimitA+0]    // Move shadow to real if we are within 2^32
v_mfma_f64_16x16x4f64 a[16+0:23+0], v[vgprValuB_X0_I0+0+0+0:vgprValuB_X0_I0+0+0+0+1], v[vgprValuA_X0_I0+4+0+0:vgprValuA_X0_I0+4+0+0+1], a[16:23]
/*  mfmaIndex:3  */
_ds_load_b64 v[vgprValuA_X1_I0+6:vgprValuA_X1_I0+6+1], v[vgprLocalReadAddrA] offset:8712 // L -> Reg lro=1024 swapByteOffset=0 ti=64 vIdx=1 rIdx=0 oIdx=0 buffer=1 iui=0
_ds_load_b64 v[vgprValuA_X1_I1+0:vgprValuA_X1_I1+0+1], v[vgprLocalReadAddrA] offset:12288 // L -> Reg lro=1536 swapByteOffset=0 ti=64 vIdx=0 rIdx=0 oIdx=0 buffer=1 iui=1

/* global read inc B loopL */
s_add_u32 s[sgprSrdB+0], s[sgprSrdB+0], s[sgprGlobalReadIncsB+0] // gra SRD += inc(lower)
s_addc_u32  s[sgprSrdB+1], s[sgprSrdB+1], 0        // gra SRD += inc(upper)
s_sub_u32 s[sgprShadowLimitB+0], s[sgprShadowLimitB+0], s[sgprGlobalReadIncsB+0] // limit -= inc)
v_mfma_f64_16x16x4f64 a[24+0:31+0], v[vgprValuB_X0_I0+0+0+0:vgprValuB_X0_I0+0+0+0+1], v[vgprValuA_X0_I0+6+0+0:vgprValuA_X0_I0+6+0+0+1], a[24:31]
/*  mfmaIndex:4  */
_ds_load_b64 v[vgprValuB_X1_I1+0:vgprValuB_X1_I1+0+1], v[vgprLocalReadAddrB] offset:1536 // L -> Reg lro=192 swapByteOffset=0 ti=16 vIdx=0 rIdx=0 oIdx=0 buffer=1 iui=1
_ds_load_b64 v[vgprValuA_X1_I1+2:vgprValuA_X1_I1+2+1], v[vgprLocalReadAddrA] offset:12296 // L -> Reg lro=1536 swapByteOffset=0 ti=64 vIdx=0 rIdx=0 oIdx=0 buffer=1 iui=1
s_subb_u32 s[sgprShadowLimitB+1], s[sgprShadowLimitB+1], 0 // limit -= inc)
s_cmp_eq_u32 s[sgprShadowLimitB+1], 0              // are we within 2^32?
s_cmov_b32 s[sgprSrdB+2], s[sgprShadowLimitB+0]    // Move shadow to real if we are within 2^32
v_mfma_f64_16x16x4f64 a[0+0:7+0], v[vgprValuB_X0_I1+0+0+0:vgprValuB_X0_I1+0+0+0+1], v[vgprValuA_X0_I1+0+0+0:vgprValuA_X0_I1+0+0+0+1], a[0:7]
/*  mfmaIndex:5  */
_ds_load_b64 v[vgprValuA_X1_I1+4:vgprValuA_X1_I1+4+1], v[vgprLocalReadAddrA] offset:12800 // L -> Reg lro=1536 swapByteOffset=0 ti=64 vIdx=1 rIdx=0 oIdx=0 buffer=1 iui=1
_ds_load_b64 v[vgprValuA_X1_I1+6:vgprValuA_X1_I1+6+1], v[vgprLocalReadAddrA] offset:12808 // L -> Reg lro=1536 swapByteOffset=0 ti=64 vIdx=1 rIdx=0 oIdx=0 buffer=1 iui=1
/* localReadsVacancy: latencyLeft 1 */
v_mfma_f64_16x16x4f64 a[8+0:15+0], v[vgprValuB_X0_I1+0+0+0:vgprValuB_X0_I1+0+0+0+1], v[vgprValuA_X0_I1+2+0+0:vgprValuA_X0_I1+2+0+0+1], a[8:15]
/*  mfmaIndex:6  */
/* localReadsVacancy: latencyLeft 5 */
_ds_load_b64 v[vgprValuA_X2_I0+0:vgprValuA_X2_I0+0+1], v[vgprLocalReadAddrA] offset:16384 // L -> Reg lro=2048 swapByteOffset=0 ti=64 vIdx=0 rIdx=0 oIdx=0 buffer=2 iui=0
_ds_load_b64 v[vgprValuB_X2_I0+0:vgprValuB_X2_I0+0+1], v[vgprLocalReadAddrB] offset:2048 // L -> Reg lro=256 swapByteOffset=0 ti=16 vIdx=0 rIdx=0 oIdx=0 buffer=2 iui=0
v_mfma_f64_16x16x4f64 a[16+0:23+0], v[vgprValuB_X0_I1+0+0+0:vgprValuB_X0_I1+0+0+0+1], v[vgprValuA_X0_I1+4+0+0:vgprValuA_X0_I1+4+0+0+1], a[16:23]
/*  mfmaIndex:7  */
/* localReadsVacancy: latencyLeft 5 */
_ds_load_b64 v[vgprValuA_X2_I0+2:vgprValuA_X2_I0+2+1], v[vgprLocalReadAddrA] offset:16392 // L -> Reg lro=2048 swapByteOffset=0 ti=64 vIdx=0 rIdx=0 oIdx=0 buffer=2 iui=0
_ds_load_b64 v[vgprValuA_X2_I0+4:vgprValuA_X2_I0+4+1], v[vgprLocalReadAddrA] offset:16896 // L -> Reg lro=2048 swapByteOffset=0 ti=64 vIdx=1 rIdx=0 oIdx=0 buffer=2 iui=0
v_mfma_f64_16x16x4f64 a[24+0:31+0], v[vgprValuB_X0_I1+0+0+0:vgprValuB_X0_I1+0+0+0+1], v[vgprValuA_X0_I1+6+0+0:vgprValuA_X0_I1+6+0+0+1], a[24:31]
/* numPrefetchIter=0 */
/* dataAtIterA=-1 numReadsIterA=1 skipReadsIterA=1 readsPerIterA=8 */
/* dataAtIterB=-1 numReadsIterB=1 skipReadsIterB=1 readsPerIterB=2 */


/* iter 1 */

/*  grEndMfmaIndex:4, lwStartMfmaIndex:19, lwEndMfmaIndex:22  */
/*  numMfmaForLR:7, barrierMfmaIndex:24, LocalWritePerMfma:5.735 */
/*  mfmaIndex:8  */
_ds_load_b64 v[vgprValuA_X2_I0+6:vgprValuA_X2_I0+6+1], v[vgprLocalReadAddrA] offset:16904 // L -> Reg lro=2048 swapByteOffset=0 ti=64 vIdx=1 rIdx=0 oIdx=0 buffer=2 iui=0
_ds_load_b64 v[vgprValuA_X2_I1+0:vgprValuA_X2_I1+0+1], v[vgprLocalReadAddrA] offset:20480 // L -> Reg lro=2560 swapByteOffset=0 ti=64 vIdx=0 rIdx=0 oIdx=0 buffer=2 iui=1
s_waitcnt lgkmcnt(6)                               // lgkmcnt=0 vmcnt=-1wait for prior local read local write old=4, new=6 newLW=0 newLR=2
v_mfma_f64_16x16x4f64 a[0+0:7+0], v[vgprValuB_X1_I0+0+0+0:vgprValuB_X1_I0+0+0+0+1], v[vgprValuA_X1_I0+0+0+0:vgprValuA_X1_I0+0+0+0+1], a[0:7]
/*  mfmaIndex:9  */
_ds_load_b64 v[vgprValuB_X2_I1+0:vgprValuB_X2_I1+0+1], v[vgprLocalReadAddrB] offset:2560 // L -> Reg lro=320 swapByteOffset=0 ti=16 vIdx=0 rIdx=0 oIdx=0 buffer=2 iui=1
_ds_load_b64 v[vgprValuA_X2_I1+2:vgprValuA_X2_I1+2+1], v[vgprLocalReadAddrA] offset:20488 // L -> Reg lro=2560 swapByteOffset=0 ti=64 vIdx=0 rIdx=0 oIdx=0 buffer=2 iui=1
v_mfma_f64_16x16x4f64 a[8+0:15+0], v[vgprValuB_X1_I0+0+0+0:vgprValuB_X1_I0+0+0+0+1], v[vgprValuA_X1_I0+2+0+0:vgprValuA_X1_I0+2+0+0+1], a[8:15]
/*  mfmaIndex:10  */
_ds_load_b64 v[vgprValuA_X2_I1+4:vgprValuA_X2_I1+4+1], v[vgprLocalReadAddrA] offset:20992 // L -> Reg lro=2560 swapByteOffset=0 ti=64 vIdx=1 rIdx=0 oIdx=0 buffer=2 iui=1
_ds_load_b64 v[vgprValuA_X2_I1+6:vgprValuA_X2_I1+6+1], v[vgprLocalReadAddrA] offset:21000 // L -> Reg lro=2560 swapByteOffset=0 ti=64 vIdx=1 rIdx=0 oIdx=0 buffer=2 iui=1
/* localReadsVacancy: latencyLeft 1 */
v_mfma_f64_16x16x4f64 a[16+0:23+0], v[vgprValuB_X1_I0+0+0+0:vgprValuB_X1_I0+0+0+0+1], v[vgprValuA_X1_I0+4+0+0:vgprValuA_X1_I0+4+0+0+1], a[16:23]
/*  mfmaIndex:11  */
/* localReadsVacancy: latencyLeft 5 */
_ds_load_b64 v[vgprValuA_X3_I0+0:vgprValuA_X3_I0+0+1], v[vgprLocalReadAddrA] offset:24576 // L -> Reg lro=3072 swapByteOffset=0 ti=64 vIdx=0 rIdx=0 oIdx=0 buffer=3 iui=0
_ds_load_b64 v[vgprValuB_X3_I0+0:vgprValuB_X3_I0+0+1], v[vgprLocalReadAddrB] offset:3072 // L -> Reg lro=384 swapByteOffset=0 ti=16 vIdx=0 rIdx=0 oIdx=0 buffer=3 iui=0
v_mfma_f64_16x16x4f64 a[24+0:31+0], v[vgprValuB_X1_I0+0+0+0:vgprValuB_X1_I0+0+0+0+1], v[vgprValuA_X1_I0+6+0+0:vgprValuA_X1_I0+6+0+0+1], a[24:31]
/*  mfmaIndex:12  */
/* localReadsVacancy: latencyLeft 5 */
_ds_load_b64 v[vgprValuA_X3_I0+2:vgprValuA_X3_I0+2+1], v[vgprLocalReadAddrA] offset:24584 // L -> Reg lro=3072 swapByteOffset=0 ti=64 vIdx=0 rIdx=0 oIdx=0 buffer=3 iui=0
_ds_load_b64 v[vgprValuA_X3_I0+4:vgprValuA_X3_I0+4+1], v[vgprLocalReadAddrA] offset:25088 // L -> Reg lro=3072 swapByteOffset=0 ti=64 vIdx=1 rIdx=0 oIdx=0 buffer=3 iui=0
v_mfma_f64_16x16x4f64 a[0+0:7+0], v[vgprValuB_X1_I1+0+0+0:vgprValuB_X1_I1+0+0+0+1], v[vgprValuA_X1_I1+0+0+0:vgprValuA_X1_I1+0+0+0+1], a[0:7]
/*  mfmaIndex:13  */
/* localReadsVacancy: latencyLeft 5 */
_ds_load_b64 v[vgprValuA_X3_I0+6:vgprValuA_X3_I0+6+1], v[vgprLocalReadAddrA] offset:25096 // L -> Reg lro=3072 swapByteOffset=0 ti=64 vIdx=1 rIdx=0 oIdx=0 buffer=3 iui=0
_ds_load_b64 v[vgprValuA_X3_I1+0:vgprValuA_X3_I1+0+1], v[vgprLocalReadAddrA] offset:28672 // L -> Reg lro=3584 swapByteOffset=0 ti=64 vIdx=0 rIdx=0 oIdx=0 buffer=3 iui=1
v_mfma_f64_16x16x4f64 a[8+0:15+0], v[vgprValuB_X1_I1+0+0+0:vgprValuB_X1_I1+0+0+0+1], v[vgprValuA_X1_I1+2+0+0:vgprValuA_X1_I1+2+0+0+1], a[8:15]
/*  mfmaIndex:14  */
/* localReadsVacancy: latencyLeft 5 */
_ds_load_b64 v[vgprValuB_X3_I1+0:vgprValuB_X3_I1+0+1], v[vgprLocalReadAddrB] offset:3584 // L -> Reg lro=448 swapByteOffset=0 ti=16 vIdx=0 rIdx=0 oIdx=0 buffer=3 iui=1
_ds_load_b64 v[vgprValuA_X3_I1+2:vgprValuA_X3_I1+2+1], v[vgprLocalReadAddrA] offset:28680 // L -> Reg lro=3584 swapByteOffset=0 ti=64 vIdx=0 rIdx=0 oIdx=0 buffer=3 iui=1
v_mfma_f64_16x16x4f64 a[16+0:23+0], v[vgprValuB_X1_I1+0+0+0:vgprValuB_X1_I1+0+0+0+1], v[vgprValuA_X1_I1+4+0+0:vgprValuA_X1_I1+4+0+0+1], a[16:23]
/*  mfmaIndex:15  */
/* localReadsVacancy: latencyLeft 5 */
_ds_load_b64 v[vgprValuA_X3_I1+4:vgprValuA_X3_I1+4+1], v[vgprLocalReadAddrA] offset:29184 // L -> Reg lro=3584 swapByteOffset=0 ti=64 vIdx=1 rIdx=0 oIdx=0 buffer=3 iui=1
_ds_load_b64 v[vgprValuA_X3_I1+6:vgprValuA_X3_I1+6+1], v[vgprLocalReadAddrA] offset:29192 // L -> Reg lro=3584 swapByteOffset=0 ti=64 vIdx=1 rIdx=0 oIdx=0 buffer=3 iui=1
v_mfma_f64_16x16x4f64 a[24+0:31+0], v[vgprValuB_X1_I1+0+0+0:vgprValuB_X1_I1+0+0+0+1], v[vgprValuA_X1_I1+6+0+0:vgprValuA_X1_I1+6+0+0+1], a[24:31]
/* numPrefetchIter=0 */
/* dataAtIterA=0 numReadsIterA=2 skipReadsIterA=1 readsPerIterA=8 */
/* dataAtIterB=0 numReadsIterB=2 skipReadsIterB=1 readsPerIterB=2 */


/* iter 2 (reset local read pointers iteration)  (swap and reset local write pointers iteration)  (swap local read pointers iteration)  */

/*  grEndMfmaIndex:4, lwStartMfmaIndex:19, lwEndMfmaIndex:22  */
/*  numMfmaForLR:7, barrierMfmaIndex:24, LocalWritePerMfma:5.735 */
/*  mfmaIndex:16  */
/* localReadsVacancy: latencyLeft 5 */
s_waitcnt lgkmcnt(10)                              // lgkmcnt=0 vmcnt=-1wait for prior local read local write old=10, new=10 newLW=0 newLR=0
v_mfma_f64_16x16x4f64 a[0+0:7+0], v[vgprValuB_X2_I0+0+0+0:vgprValuB_X2_I0+0+0+0+1], v[vgprValuA_X2_I0+0+0+0:vgprValuA_X2_I0+0+0+0+1], a[0:7]
/*  mfmaIndex:17  */
/* localReadsVacancy: latencyLeft 5 */
v_mfma_f64_16x16x4f64 a[8+0:15+0], v[vgprValuB_X2_I0+0+0+0:vgprValuB_X2_I0+0+0+0+1], v[vgprValuA_X2_I0+2+0+0:vgprValuA_X2_I0+2+0+0+1], a[8:15]
/*  mfmaIndex:18  */
/* localReadsVacancy: latencyLeft 5 */
/* 1 LDS buffer: read-sync-write */
s_waitcnt lgkmcnt(0)                               // 
s_barrier                                          // 
v_mfma_f64_16x16x4f64 a[16+0:23+0], v[vgprValuB_X2_I0+0+0+0:vgprValuB_X2_I0+0+0+0+1], v[vgprValuA_X2_I0+4+0+0:vgprValuA_X2_I0+4+0+0+1], a[16:23]
/*  mfmaIndex:19  */
s_setprio 3                                        // store optimization
/* sched write - iter 2 writesPerItem=2 */
s_waitcnt vmcnt(0)                                 // lgkmcnt=-1 vmcnt=0wait for global read before writing to local
_ds_store_b64 v[vgprLocalWriteAddrA], v[vgprG2LA+0:vgprG2LA+0+1] offset:0 // lwoA_0_0_0_0 = (0 + 0*LSCA)*(MT0I+PAD) + (0*LSPA) = 0
_ds_store_b64 v[vgprLocalWriteAddrA], v[vgprG2LA+2:vgprG2LA+2+1] offset:1024 // lwoA_0_1_0_0 = (1 + 0*LSCA)*(MT0I+PAD) + (0*LSPA) = 1024
_buffer_load_b128 v[vgprG2LA+0:vgprG2LA+0+3], v[vgprGlobalReadOffsetA+0], s[sgprSrdA:sgprSrdA+3], 0, offen offset:0 // G -> Reg 0_0_0_0
/* sched write - iter 2 writesPerItem=2 */
s_waitcnt vmcnt(0)                                 // lgkmcnt=-1 vmcnt=0wait for global read before writing to local
_ds_store_b64 v[vgprLocalWriteAddrA], v[vgprG2LA+4:vgprG2LA+4+1] offset:64 // lwoA_0_0_1_0 = (0 + 0*LSCA)*(MT0I+PAD) + (1*LSPA) = 64
_ds_store_b64 v[vgprLocalWriteAddrA], v[vgprG2LA+6:vgprG2LA+6+1] offset:1088 // lwoA_0_1_1_0 = (1 + 0*LSCA)*(MT0I+PAD) + (1*LSPA) = 1088
_buffer_load_b128 v[vgprG2LA+4:vgprG2LA+4+3], v[vgprGlobalReadOffsetA+0], s[sgprSrdA:sgprSrdA+3], s[sgprScalarGlobalReadOffsetA+0], offen offset:0 // G -> Reg 0_0_1_0
/* sched write - iter 2 writesPerItem=2 */
s_waitcnt vmcnt(0)                                 // lgkmcnt=-1 vmcnt=0wait for global read before writing to local
_ds_store_b64 v[vgprLocalWriteAddrA], v[vgprG2LA+8:vgprG2LA+8+1] offset:128 // lwoA_0_0_2_0 = (0 + 0*LSCA)*(MT0I+PAD) + (2*LSPA) = 128
_ds_store_b64 v[vgprLocalWriteAddrA], v[vgprG2LA+10:vgprG2LA+10+1] offset:1152 // lwoA_0_1_2_0 = (1 + 0*LSCA)*(MT0I+PAD) + (2*LSPA) = 1152
_buffer_load_b128 v[vgprG2LA+8:vgprG2LA+8+3], v[vgprGlobalReadOffsetA+0], s[sgprSrdA:sgprSrdA+3], s[sgprScalarGlobalReadOffsetA+1], offen offset:0 // G -> Reg 0_0_2_0
/* sched write - iter 2 writesPerItem=2 */
s_waitcnt vmcnt(0)                                 // lgkmcnt=-1 vmcnt=0wait for global read before writing to local
_ds_store_b64 v[vgprLocalWriteAddrA], v[vgprG2LA+12:vgprG2LA+12+1] offset:192 // lwoA_0_0_3_0 = (0 + 0*LSCA)*(MT0I+PAD) + (3*LSPA) = 192
_ds_store_b64 v[vgprLocalWriteAddrA], v[vgprG2LA+14:vgprG2LA+14+1] offset:1216 // lwoA_0_1_3_0 = (1 + 0*LSCA)*(MT0I+PAD) + (3*LSPA) = 1216
_buffer_load_b128 v[vgprG2LA+12:vgprG2LA+12+3], v[vgprGlobalReadOffsetA+0], s[sgprSrdA:sgprSrdA+3], s[sgprScalarGlobalReadOffsetA+2], offen offset:0 // G -> Reg 0_0_3_0
/* sched write - iter 2 writesPerItem=2 */
s_waitcnt vmcnt(0)                                 // lgkmcnt=-1 vmcnt=0wait for global read before writing to local
_ds_store_b64 v[vgprLocalWriteAddrA], v[vgprG2LA+16:vgprG2LA+16+1] offset:256 // lwoA_0_0_4_0 = (0 + 0*LSCA)*(MT0I+PAD) + (4*LSPA) = 256
_ds_store_b64 v[vgprLocalWriteAddrA], v[vgprG2LA+18:vgprG2LA+18+1] offset:1280 // lwoA_0_1_4_0 = (1 + 0*LSCA)*(MT0I+PAD) + (4*LSPA) = 1280
_buffer_load_b128 v[vgprG2LA+16:vgprG2LA+16+3], v[vgprGlobalReadOffsetA+0], s[sgprSrdA:sgprSrdA+3], s[sgprScalarGlobalReadOffsetA+3], offen offset:0 // G -> Reg 0_0_4_0
/* sched write - iter 2 writesPerItem=2 */
s_waitcnt vmcnt(0)                                 // lgkmcnt=-1 vmcnt=0wait for global read before writing to local
_ds_store_b64 v[vgprLocalWriteAddrA], v[vgprG2LA+20:vgprG2LA+20+1] offset:320 // lwoA_0_0_5_0 = (0 + 0*LSCA)*(MT0I+PAD) + (5*LSPA) = 320
_ds_store_b64 v[vgprLocalWriteAddrA], v[vgprG2LA+22:vgprG2LA+22+1] offset:1344 // lwoA_0_1_5_0 = (1 + 0*LSCA)*(MT0I+PAD) + (5*LSPA) = 1344
v_mfma_f64_16x16x4f64 a[24+0:31+0], v[vgprValuB_X2_I0+0+0+0:vgprValuB_X2_I0+0+0+0+1], v[vgprValuA_X2_I0+6+0+0:vgprValuA_X2_I0+6+0+0+1], a[24:31]
/*  mfmaIndex:20  */
_buffer_load_b128 v[vgprG2LA+20:vgprG2LA+20+3], v[vgprGlobalReadOffsetA+0], s[sgprSrdA:sgprSrdA+3], s[sgprScalarGlobalReadOffsetA+4], offen offset:0 // G -> Reg 0_0_5_0
/* sched write - iter 2 writesPerItem=2 */
s_waitcnt vmcnt(0)                                 // lgkmcnt=-1 vmcnt=0wait for global read before writing to local
_ds_store_b64 v[vgprLocalWriteAddrA], v[vgprG2LA+24:vgprG2LA+24+1] offset:384 // lwoA_0_0_6_0 = (0 + 0*LSCA)*(MT0I+PAD) + (6*LSPA) = 384
_ds_store_b64 v[vgprLocalWriteAddrA], v[vgprG2LA+26:vgprG2LA+26+1] offset:1408 // lwoA_0_1_6_0 = (1 + 0*LSCA)*(MT0I+PAD) + (6*LSPA) = 1408
_buffer_load_b128 v[vgprG2LA+24:vgprG2LA+24+3], v[vgprGlobalReadOffsetA+0], s[sgprSrdA:sgprSrdA+3], s[sgprScalarGlobalReadOffsetA+5], offen offset:0 // G -> Reg 0_0_6_0
/* sched write - iter 2 writesPerItem=2 */
s_waitcnt vmcnt(0)                                 // lgkmcnt=-1 vmcnt=0wait for global read before writing to local
_ds_store_b64 v[vgprLocalWriteAddrA], v[vgprG2LA+28:vgprG2LA+28+1] offset:448 // lwoA_0_0_7_0 = (0 + 0*LSCA)*(MT0I+PAD) + (7*LSPA) = 448
_ds_store_b64 v[vgprLocalWriteAddrA], v[vgprG2LA+30:vgprG2LA+30+1] offset:1472 // lwoA_0_1_7_0 = (1 + 0*LSCA)*(MT0I+PAD) + (7*LSPA) = 1472
_buffer_load_b128 v[vgprG2LA+28:vgprG2LA+28+3], v[vgprGlobalReadOffsetA+0], s[sgprSrdA:sgprSrdA+3], s[sgprScalarGlobalReadOffsetA+6], offen offset:0 // G -> Reg 0_0_7_0
/* sched write - iter 2 writesPerItem=2 */
s_waitcnt vmcnt(0)                                 // lgkmcnt=-1 vmcnt=0wait for global read before writing to local
_ds_store_b64 v[vgprLocalWriteAddrA], v[vgprG2LA+32:vgprG2LA+32+1] offset:512 // lwoA_0_0_8_0 = (0 + 0*LSCA)*(MT0I+PAD) + (8*LSPA) = 512
_ds_store_b64 v[vgprLocalWriteAddrA], v[vgprG2LA+34:vgprG2LA+34+1] offset:1536 // lwoA_0_1_8_0 = (1 + 0*LSCA)*(MT0I+PAD) + (8*LSPA) = 1536
_buffer_load_b128 v[vgprG2LA+32:vgprG2LA+32+3], v[vgprGlobalReadOffsetA+0], s[sgprSrdA:sgprSrdA+3], s[sgprScalarGlobalReadOffsetA+7], offen offset:0 // G -> Reg 0_0_8_0
/* sched write - iter 2 writesPerItem=2 */
s_waitcnt vmcnt(0)                                 // lgkmcnt=-1 vmcnt=0wait for global read before writing to local
_ds_store_b64 v[vgprLocalWriteAddrA], v[vgprG2LA+36:vgprG2LA+36+1] offset:576 // lwoA_0_0_9_0 = (0 + 0*LSCA)*(MT0I+PAD) + (9*LSPA) = 576
_ds_store_b64 v[vgprLocalWriteAddrA], v[vgprG2LA+38:vgprG2LA+38+1] offset:1600 // lwoA_0_1_9_0 = (1 + 0*LSCA)*(MT0I+PAD) + (9*LSPA) = 1600
_buffer_load_b128 v[vgprG2LA+36:vgprG2LA+36+3], v[vgprGlobalReadOffsetA+0], s[sgprSrdA:sgprSrdA+3], s[sgprScalarGlobalReadOffsetA+8], offen offset:0 // G -> Reg 0_0_9_0
/* sched write - iter 2 writesPerItem=2 */
s_waitcnt vmcnt(0)                                 // lgkmcnt=-1 vmcnt=0wait for global read before writing to local
_ds_store_b64 v[vgprLocalWriteAddrA], v[vgprG2LA+40:vgprG2LA+40+1] offset:640 // lwoA_0_0_10_0 = (0 + 0*LSCA)*(MT0I+PAD) + (10*LSPA) = 640
_ds_store_b64 v[vgprLocalWriteAddrA], v[vgprG2LA+42:vgprG2LA+42+1] offset:1664 // lwoA_0_1_10_0 = (1 + 0*LSCA)*(MT0I+PAD) + (10*LSPA) = 1664
_buffer_load_b128 v[vgprG2LA+40:vgprG2LA+40+3], v[vgprGlobalReadOffsetA+0], s[sgprSrdA:sgprSrdA+3], s[sgprScalarGlobalReadOffsetA+9], offen offset:0 // G -> Reg 0_0_10_0
/* sched write - iter 2 writesPerItem=2 */
s_waitcnt vmcnt(0)                                 // lgkmcnt=-1 vmcnt=0wait for global read before writing to local
_ds_store_b64 v[vgprLocalWriteAddrA], v[vgprG2LA+44:vgprG2LA+44+1] offset:704 // lwoA_0_0_11_0 = (0 + 0*LSCA)*(MT0I+PAD) + (11*LSPA) = 704
_ds_store_b64 v[vgprLocalWriteAddrA], v[vgprG2LA+46:vgprG2LA+46+1] offset:1728 // lwoA_0_1_11_0 = (1 + 0*LSCA)*(MT0I+PAD) + (11*LSPA) = 1728
v_mfma_f64_16x16x4f64 a[0+0:7+0], v[vgprValuB_X2_I1+0+0+0:vgprValuB_X2_I1+0+0+0+1], v[vgprValuA_X2_I1+0+0+0:vgprValuA_X2_I1+0+0+0+1], a[0:7]
/*  mfmaIndex:21  */
_buffer_load_b128 v[vgprG2LA+44:vgprG2LA+44+3], v[vgprGlobalReadOffsetA+0], s[sgprSrdA:sgprSrdA+3], s[sgprScalarGlobalReadOffsetA+10], offen offset:0 // G -> Reg 0_0_11_0
/* sched write - iter 2 writesPerItem=2 */
s_waitcnt vmcnt(0)                                 // lgkmcnt=-1 vmcnt=0wait for global read before writing to local
_ds_store_b64 v[vgprLocalWriteAddrA], v[vgprG2LA+48:vgprG2LA+48+1] offset:768 // lwoA_0_0_12_0 = (0 + 0*LSCA)*(MT0I+PAD) + (12*LSPA) = 768
_ds_store_b64 v[vgprLocalWriteAddrA], v[vgprG2LA+50:vgprG2LA+50+1] offset:1792 // lwoA_0_1_12_0 = (1 + 0*LSCA)*(MT0I+PAD) + (12*LSPA) = 1792
_buffer_load_b128 v[vgprG2LA+48:vgprG2LA+48+3], v[vgprGlobalReadOffsetA+0], s[sgprSrdA:sgprSrdA+3], s[sgprScalarGlobalReadOffsetA+11], offen offset:0 // G -> Reg 0_0_12_0
/* sched write - iter 2 writesPerItem=2 */
s_waitcnt vmcnt(0)                                 // lgkmcnt=-1 vmcnt=0wait for global read before writing to local
_ds_store_b64 v[vgprLocalWriteAddrA], v[vgprG2LA+52:vgprG2LA+52+1] offset:832 // lwoA_0_0_13_0 = (0 + 0*LSCA)*(MT0I+PAD) + (13*LSPA) = 832
_ds_store_b64 v[vgprLocalWriteAddrA], v[vgprG2LA+54:vgprG2LA+54+1] offset:1856 // lwoA_0_1_13_0 = (1 + 0*LSCA)*(MT0I+PAD) + (13*LSPA) = 1856
_buffer_load_b128 v[vgprG2LA+52:vgprG2LA+52+3], v[vgprGlobalReadOffsetA+0], s[sgprSrdA:sgprSrdA+3], s[sgprScalarGlobalReadOffsetA+12], offen offset:0 // G -> Reg 0_0_13_0
/* sched write - iter 2 writesPerItem=2 */
s_waitcnt vmcnt(0)                                 // lgkmcnt=-1 vmcnt=0wait for global read before writing to local
_ds_store_b64 v[vgprLocalWriteAddrA], v[vgprG2LA+56:vgprG2LA+56+1] offset:896 // lwoA_0_0_14_0 = (0 + 0*LSCA)*(MT0I+PAD) + (14*LSPA) = 896
_ds_store_b64 v[vgprLocalWriteAddrA], v[vgprG2LA+58:vgprG2LA+58+1] offset:1920 // lwoA_0_1_14_0 = (1 + 0*LSCA)*(MT0I+PAD) + (14*LSPA) = 1920
_buffer_load_b128 v[vgprG2LA+56:vgprG2LA+56+3], v[vgprGlobalReadOffsetA+0], s[sgprSrdA:sgprSrdA+3], s[sgprScalarGlobalReadOffsetA+13], offen offset:0 // G -> Reg 0_0_14_0
/* sched write - iter 2 writesPerItem=2 */
s_waitcnt vmcnt(0)                                 // lgkmcnt=-1 vmcnt=0wait for global read before writing to local
_ds_store_b64 v[vgprLocalWriteAddrA], v[vgprG2LA+60:vgprG2LA+60+1] offset:960 // lwoA_0_0_15_0 = (0 + 0*LSCA)*(MT0I+PAD) + (15*LSPA) = 960
_ds_store_b64 v[vgprLocalWriteAddrA], v[vgprG2LA+62:vgprG2LA+62+1] offset:1984 // lwoA_0_1_15_0 = (1 + 0*LSCA)*(MT0I+PAD) + (15*LSPA) = 1984
_buffer_load_b128 v[vgprG2LA+60:vgprG2LA+60+3], v[vgprGlobalReadOffsetA+0], s[sgprSrdA:sgprSrdA+3], s[sgprScalarGlobalReadOffsetA+14], offen offset:0 // G -> Reg 0_0_15_0
/* sched write - iter 2 writesPerItem=2 */
s_waitcnt vmcnt(0)                                 // lgkmcnt=-1 vmcnt=0wait for global read before writing to local
_ds_store_b64 v[vgprLocalWriteAddrB], v[vgprG2LB+0:vgprG2LB+0+1] offset:0 // lwoB_0_0_0_0 = (0 + 0*LSCB)*(MT1J+PAD) + (0*LSPB) = 0
_ds_store_b64 v[vgprLocalWriteAddrB], v[vgprG2LB+2:vgprG2LB+2+1] offset:128 // lwoB_0_1_0_0 = (1 + 0*LSCB)*(MT1J+PAD) + (0*LSPB) = 128
_buffer_load_b128 v[vgprG2LB+0:vgprG2LB+0+3], v[vgprGlobalReadOffsetB+0], s[sgprSrdB:sgprSrdB+3], 0, offen offset:0 // G -> Reg 0_0_0_0
/* sched write - iter 2 writesPerItem=2 */
s_waitcnt vmcnt(0)                                 // lgkmcnt=-1 vmcnt=0wait for global read before writing to local
_ds_store_b64 v[vgprLocalWriteAddrB], v[vgprG2LB+4:vgprG2LB+4+1] offset:64 // lwoB_0_0_1_0 = (0 + 0*LSCB)*(MT1J+PAD) + (1*LSPB) = 64
_ds_store_b64 v[vgprLocalWriteAddrB], v[vgprG2LB+6:vgprG2LB+6+1] offset:192 // lwoB_0_1_1_0 = (1 + 0*LSCB)*(MT1J+PAD) + (1*LSPB) = 192
v_mfma_f64_16x16x4f64 a[8+0:15+0], v[vgprValuB_X2_I1+0+0+0:vgprValuB_X2_I1+0+0+0+1], v[vgprValuA_X2_I1+2+0+0:vgprValuA_X2_I1+2+0+0+1], a[8:15]
/*  mfmaIndex:22  */
_buffer_load_b128 v[vgprG2LB+4:vgprG2LB+4+3], v[vgprGlobalReadOffsetB+0], s[sgprSrdB:sgprSrdB+3], s[sgprScalarGlobalReadOffsetB+0], offen offset:0 // G -> Reg 0_0_1_0

/* local write swap offsets a */

/* local write swap offsets b */
v_mfma_f64_16x16x4f64 a[16+0:23+0], v[vgprValuB_X2_I1+0+0+0:vgprValuB_X2_I1+0+0+0+1], v[vgprValuA_X2_I1+4+0+0:vgprValuA_X2_I1+4+0+0+1], a[16:23]
/*  mfmaIndex:23  */

/* local read swap offsets a */

/* local read swap offsets b */

/* local read init pointers a */

/* localReadInitPointers */

/* local read init pointers b */

/* localReadInitPointers */
v_mfma_f64_16x16x4f64 a[24+0:31+0], v[vgprValuB_X2_I1+0+0+0:vgprValuB_X2_I1+0+0+0+1], v[vgprValuA_X2_I1+6+0+0:vgprValuA_X2_I1+6+0+0+1], a[24:31]
s_setprio 0                                        // store optimization
/* numPrefetchIter=0 */
/* dataAtIterA=1 numReadsIterA=3 skipReadsIterA=1 readsPerIterA=8 */
/* dataAtIterB=1 numReadsIterB=3 skipReadsIterB=1 readsPerIterB=2 */


/* iter 3 */

/*  grEndMfmaIndex:4, lwStartMfmaIndex:19, lwEndMfmaIndex:22  */
/*  numMfmaForLR:7, barrierMfmaIndex:24, LocalWritePerMfma:5.735 */
/*  mfmaIndex:24  */
s_waitcnt lgkmcnt(0)                               // lgkmcnt=0 vmcnt=-13wait for local write
// Skip force waitcnt0
s_barrier //
v_mfma_f64_16x16x4f64 a[0+0:7+0], v[vgprValuB_X3_I0+0+0+0:vgprValuB_X3_I0+0+0+0+1], v[vgprValuA_X3_I0+0+0+0:vgprValuA_X3_I0+0+0+0+1], a[0:7]
/*  mfmaIndex:25  */
s_setprio 3                                        // store optimization
_ds_load_b64 v[vgprValuA_X0_I0+0:vgprValuA_X0_I0+0+1], v[vgprLocalReadAddrA] offset:0 // L -> Reg lro=0 swapByteOffset=0 ti=64 vIdx=0 rIdx=0 oIdx=0 buffer=0 iui=0
_ds_load_b64 v[vgprValuB_X0_I0+0:vgprValuB_X0_I0+0+1], v[vgprLocalReadAddrB] offset:0 // L -> Reg lro=0 swapByteOffset=0 ti=16 vIdx=0 rIdx=0 oIdx=0 buffer=0 iui=0
v_mfma_f64_16x16x4f64 a[8+0:15+0], v[vgprValuB_X3_I0+0+0+0:vgprValuB_X3_I0+0+0+0+1], v[vgprValuA_X3_I0+2+0+0:vgprValuA_X3_I0+2+0+0+1], a[8:15]
/*  mfmaIndex:26  */
_ds_load_b64 v[vgprValuA_X0_I0+2:vgprValuA_X0_I0+2+1], v[vgprLocalReadAddrA] offset:8 // L -> Reg lro=0 swapByteOffset=0 ti=64 vIdx=0 rIdx=0 oIdx=0 buffer=0 iui=0
_ds_load_b64 v[vgprValuA_X0_I0+4:vgprValuA_X0_I0+4+1], v[vgprLocalReadAddrA] offset:512 // L -> Reg lro=0 swapByteOffset=0 ti=64 vIdx=1 rIdx=0 oIdx=0 buffer=0 iui=0
v_mfma_f64_16x16x4f64 a[16+0:23+0], v[vgprValuB_X3_I0+0+0+0:vgprValuB_X3_I0+0+0+0+1], v[vgprValuA_X3_I0+4+0+0:vgprValuA_X3_I0+4+0+0+1], a[16:23]
/*  mfmaIndex:27  */
_ds_load_b64 v[vgprValuA_X0_I0+6:vgprValuA_X0_I0+6+1], v[vgprLocalReadAddrA] offset:520 // L -> Reg lro=0 swapByteOffset=0 ti=64 vIdx=1 rIdx=0 oIdx=0 buffer=0 iui=0
_ds_load_b64 v[vgprValuA_X0_I1+0:vgprValuA_X0_I1+0+1], v[vgprLocalReadAddrA] offset:4096 // L -> Reg lro=512 swapByteOffset=0 ti=64 vIdx=0 rIdx=0 oIdx=0 buffer=0 iui=1
v_mfma_f64_16x16x4f64 a[24+0:31+0], v[vgprValuB_X3_I0+0+0+0:vgprValuB_X3_I0+0+0+0+1], v[vgprValuA_X3_I0+6+0+0:vgprValuA_X3_I0+6+0+0+1], a[24:31]
/*  mfmaIndex:28  */
_ds_load_b64 v[vgprValuB_X0_I1+0:vgprValuB_X0_I1+0+1], v[vgprLocalReadAddrB] offset:512 // L -> Reg lro=64 swapByteOffset=0 ti=16 vIdx=0 rIdx=0 oIdx=0 buffer=0 iui=1
_ds_load_b64 v[vgprValuA_X0_I1+2:vgprValuA_X0_I1+2+1], v[vgprLocalReadAddrA] offset:4104 // L -> Reg lro=512 swapByteOffset=0 ti=64 vIdx=0 rIdx=0 oIdx=0 buffer=0 iui=1
v_mfma_f64_16x16x4f64 a[0+0:7+0], v[vgprValuB_X3_I1+0+0+0:vgprValuB_X3_I1+0+0+0+1], v[vgprValuA_X3_I1+0+0+0:vgprValuA_X3_I1+0+0+0+1], a[0:7]
/*  mfmaIndex:29  */
_ds_load_b64 v[vgprValuA_X0_I1+4:vgprValuA_X0_I1+4+1], v[vgprLocalReadAddrA] offset:4608 // L -> Reg lro=512 swapByteOffset=0 ti=64 vIdx=1 rIdx=0 oIdx=0 buffer=0 iui=1
_ds_load_b64 v[vgprValuA_X0_I1+6:vgprValuA_X0_I1+6+1], v[vgprLocalReadAddrA] offset:4616 // L -> Reg lro=512 swapByteOffset=0 ti=64 vIdx=1 rIdx=0 oIdx=0 buffer=0 iui=1
v_mfma_f64_16x16x4f64 a[8+0:15+0], v[vgprValuB_X3_I1+0+0+0:vgprValuB_X3_I1+0+0+0+1], v[vgprValuA_X3_I1+2+0+0:vgprValuA_X3_I1+2+0+0+1], a[8:15]
/*  mfmaIndex:30  */
v_mfma_f64_16x16x4f64 a[16+0:23+0], v[vgprValuB_X3_I1+0+0+0:vgprValuB_X3_I1+0+0+0+1], v[vgprValuA_X3_I1+4+0+0:vgprValuA_X3_I1+4+0+0+1], a[16:23]
/*  mfmaIndex:31  */
v_mfma_f64_16x16x4f64 a[24+0:31+0], v[vgprValuB_X3_I1+0+0+0:vgprValuB_X3_I1+0+0+0+1], v[vgprValuA_X3_I1+6+0+0:vgprValuA_X3_I1+6+0+0+1], a[24:31]
s_setprio 0                                        // store optimization


/******************************************/
/* Unrolled Loop - End                    */
/******************************************/


/* closeLoop loopL finalLoop=1 tailLoop=0 */
s_sub_u32 s[sgprLoopCounterL], s[sgprLoopCounterL], 1 // dec counterL
s_cmp_eq_i32 s[sgprLoopCounterL], 0x2              // counterL==2
s_cbranch_scc0 LoopBeginL_1                        // restart LoopL
LoopEndL_2:


/* Before NLL: Check VGPR.checkin for INT8 LW */


/******************************************/
/* Ord. NoGlobalLoadLoop - Begin                                      */
/******************************************/


	;; [unrolled: 1-line block ×3, first 2 shown]
/* iter 0 */

/*  grEndMfmaIndex:4, lwStartMfmaIndex:19, lwEndMfmaIndex:22  */
/*  numMfmaForLR:7, barrierMfmaIndex:24, LocalWritePerMfma:5.735 */
/*  mfmaIndex:0  */
s_waitcnt lgkmcnt(0)                               // lgkmcnt=0 vmcnt=-1wait for prior local read local write old=0, new=0 newLW=0 newLR=0
v_mfma_f64_16x16x4f64 a[0+0:7+0], v[vgprValuB_X0_I0+0+0+0:vgprValuB_X0_I0+0+0+0+1], v[vgprValuA_X0_I0+0+0+0:vgprValuA_X0_I0+0+0+0+1], a[0:7]
/*  mfmaIndex:1  */
_ds_load_b64 v[vgprValuA_X1_I0+0:vgprValuA_X1_I0+0+1], v[vgprLocalReadAddrA] offset:8192 // L -> Reg lro=1024 swapByteOffset=0 ti=64 vIdx=0 rIdx=0 oIdx=0 buffer=1 iui=0
_ds_load_b64 v[vgprValuB_X1_I0+0:vgprValuB_X1_I0+0+1], v[vgprLocalReadAddrB] offset:1024 // L -> Reg lro=128 swapByteOffset=0 ti=16 vIdx=0 rIdx=0 oIdx=0 buffer=1 iui=0

/* global read inc A loopL */
s_add_u32 s[sgprSrdA+0], s[sgprSrdA+0], s[sgprGlobalReadIncsA+0] // gra SRD += inc(lower)
s_addc_u32  s[sgprSrdA+1], s[sgprSrdA+1], 0        // gra SRD += inc(upper)
s_sub_u32 s[sgprShadowLimitA+0], s[sgprShadowLimitA+0], s[sgprGlobalReadIncsA+0] // limit -= inc)
v_mfma_f64_16x16x4f64 a[8+0:15+0], v[vgprValuB_X0_I0+0+0+0:vgprValuB_X0_I0+0+0+0+1], v[vgprValuA_X0_I0+2+0+0:vgprValuA_X0_I0+2+0+0+1], a[8:15]
/*  mfmaIndex:2  */
_ds_load_b64 v[vgprValuA_X1_I0+2:vgprValuA_X1_I0+2+1], v[vgprLocalReadAddrA] offset:8200 // L -> Reg lro=1024 swapByteOffset=0 ti=64 vIdx=0 rIdx=0 oIdx=0 buffer=1 iui=0
_ds_load_b64 v[vgprValuA_X1_I0+4:vgprValuA_X1_I0+4+1], v[vgprLocalReadAddrA] offset:8704 // L -> Reg lro=1024 swapByteOffset=0 ti=64 vIdx=1 rIdx=0 oIdx=0 buffer=1 iui=0
s_subb_u32 s[sgprShadowLimitA+1], s[sgprShadowLimitA+1], 0 // limit -= inc)
s_cmp_eq_u32 s[sgprShadowLimitA+1], 0              // are we within 2^32?
s_cmov_b32 s[sgprSrdA+2], s[sgprShadowLimitA+0]    // Move shadow to real if we are within 2^32
v_mfma_f64_16x16x4f64 a[16+0:23+0], v[vgprValuB_X0_I0+0+0+0:vgprValuB_X0_I0+0+0+0+1], v[vgprValuA_X0_I0+4+0+0:vgprValuA_X0_I0+4+0+0+1], a[16:23]
/*  mfmaIndex:3  */
_ds_load_b64 v[vgprValuA_X1_I0+6:vgprValuA_X1_I0+6+1], v[vgprLocalReadAddrA] offset:8712 // L -> Reg lro=1024 swapByteOffset=0 ti=64 vIdx=1 rIdx=0 oIdx=0 buffer=1 iui=0
_ds_load_b64 v[vgprValuA_X1_I1+0:vgprValuA_X1_I1+0+1], v[vgprLocalReadAddrA] offset:12288 // L -> Reg lro=1536 swapByteOffset=0 ti=64 vIdx=0 rIdx=0 oIdx=0 buffer=1 iui=1

/* global read inc B loopL */
s_add_u32 s[sgprSrdB+0], s[sgprSrdB+0], s[sgprGlobalReadIncsB+0] // gra SRD += inc(lower)
s_addc_u32  s[sgprSrdB+1], s[sgprSrdB+1], 0        // gra SRD += inc(upper)
s_sub_u32 s[sgprShadowLimitB+0], s[sgprShadowLimitB+0], s[sgprGlobalReadIncsB+0] // limit -= inc)
v_mfma_f64_16x16x4f64 a[24+0:31+0], v[vgprValuB_X0_I0+0+0+0:vgprValuB_X0_I0+0+0+0+1], v[vgprValuA_X0_I0+6+0+0:vgprValuA_X0_I0+6+0+0+1], a[24:31]
/*  mfmaIndex:4  */
_ds_load_b64 v[vgprValuB_X1_I1+0:vgprValuB_X1_I1+0+1], v[vgprLocalReadAddrB] offset:1536 // L -> Reg lro=192 swapByteOffset=0 ti=16 vIdx=0 rIdx=0 oIdx=0 buffer=1 iui=1
_ds_load_b64 v[vgprValuA_X1_I1+2:vgprValuA_X1_I1+2+1], v[vgprLocalReadAddrA] offset:12296 // L -> Reg lro=1536 swapByteOffset=0 ti=64 vIdx=0 rIdx=0 oIdx=0 buffer=1 iui=1
s_subb_u32 s[sgprShadowLimitB+1], s[sgprShadowLimitB+1], 0 // limit -= inc)
s_cmp_eq_u32 s[sgprShadowLimitB+1], 0              // are we within 2^32?
s_cmov_b32 s[sgprSrdB+2], s[sgprShadowLimitB+0]    // Move shadow to real if we are within 2^32
v_mfma_f64_16x16x4f64 a[0+0:7+0], v[vgprValuB_X0_I1+0+0+0:vgprValuB_X0_I1+0+0+0+1], v[vgprValuA_X0_I1+0+0+0:vgprValuA_X0_I1+0+0+0+1], a[0:7]
/*  mfmaIndex:5  */
_ds_load_b64 v[vgprValuA_X1_I1+4:vgprValuA_X1_I1+4+1], v[vgprLocalReadAddrA] offset:12800 // L -> Reg lro=1536 swapByteOffset=0 ti=64 vIdx=1 rIdx=0 oIdx=0 buffer=1 iui=1
_ds_load_b64 v[vgprValuA_X1_I1+6:vgprValuA_X1_I1+6+1], v[vgprLocalReadAddrA] offset:12808 // L -> Reg lro=1536 swapByteOffset=0 ti=64 vIdx=1 rIdx=0 oIdx=0 buffer=1 iui=1
/* localReadsVacancy: latencyLeft 1 */
v_mfma_f64_16x16x4f64 a[8+0:15+0], v[vgprValuB_X0_I1+0+0+0:vgprValuB_X0_I1+0+0+0+1], v[vgprValuA_X0_I1+2+0+0:vgprValuA_X0_I1+2+0+0+1], a[8:15]
/*  mfmaIndex:6  */
/* localReadsVacancy: latencyLeft 5 */
_ds_load_b64 v[vgprValuA_X2_I0+0:vgprValuA_X2_I0+0+1], v[vgprLocalReadAddrA] offset:16384 // L -> Reg lro=2048 swapByteOffset=0 ti=64 vIdx=0 rIdx=0 oIdx=0 buffer=2 iui=0
_ds_load_b64 v[vgprValuB_X2_I0+0:vgprValuB_X2_I0+0+1], v[vgprLocalReadAddrB] offset:2048 // L -> Reg lro=256 swapByteOffset=0 ti=16 vIdx=0 rIdx=0 oIdx=0 buffer=2 iui=0
v_mfma_f64_16x16x4f64 a[16+0:23+0], v[vgprValuB_X0_I1+0+0+0:vgprValuB_X0_I1+0+0+0+1], v[vgprValuA_X0_I1+4+0+0:vgprValuA_X0_I1+4+0+0+1], a[16:23]
/*  mfmaIndex:7  */
/* localReadsVacancy: latencyLeft 5 */
_ds_load_b64 v[vgprValuA_X2_I0+2:vgprValuA_X2_I0+2+1], v[vgprLocalReadAddrA] offset:16392 // L -> Reg lro=2048 swapByteOffset=0 ti=64 vIdx=0 rIdx=0 oIdx=0 buffer=2 iui=0
_ds_load_b64 v[vgprValuA_X2_I0+4:vgprValuA_X2_I0+4+1], v[vgprLocalReadAddrA] offset:16896 // L -> Reg lro=2048 swapByteOffset=0 ti=64 vIdx=1 rIdx=0 oIdx=0 buffer=2 iui=0
v_mfma_f64_16x16x4f64 a[24+0:31+0], v[vgprValuB_X0_I1+0+0+0:vgprValuB_X0_I1+0+0+0+1], v[vgprValuA_X0_I1+6+0+0:vgprValuA_X0_I1+6+0+0+1], a[24:31]
/* numPrefetchIter=0 */
/* dataAtIterA=-1 numReadsIterA=1 skipReadsIterA=1 readsPerIterA=8 */
/* dataAtIterB=-1 numReadsIterB=1 skipReadsIterB=1 readsPerIterB=2 */


/* iter 1 */

/*  grEndMfmaIndex:4, lwStartMfmaIndex:19, lwEndMfmaIndex:22  */
/*  numMfmaForLR:7, barrierMfmaIndex:24, LocalWritePerMfma:5.735 */
/*  mfmaIndex:8  */
_ds_load_b64 v[vgprValuA_X2_I0+6:vgprValuA_X2_I0+6+1], v[vgprLocalReadAddrA] offset:16904 // L -> Reg lro=2048 swapByteOffset=0 ti=64 vIdx=1 rIdx=0 oIdx=0 buffer=2 iui=0
_ds_load_b64 v[vgprValuA_X2_I1+0:vgprValuA_X2_I1+0+1], v[vgprLocalReadAddrA] offset:20480 // L -> Reg lro=2560 swapByteOffset=0 ti=64 vIdx=0 rIdx=0 oIdx=0 buffer=2 iui=1
s_waitcnt lgkmcnt(6)                               // lgkmcnt=0 vmcnt=-1wait for prior local read local write old=4, new=6 newLW=0 newLR=2
v_mfma_f64_16x16x4f64 a[0+0:7+0], v[vgprValuB_X1_I0+0+0+0:vgprValuB_X1_I0+0+0+0+1], v[vgprValuA_X1_I0+0+0+0:vgprValuA_X1_I0+0+0+0+1], a[0:7]
/*  mfmaIndex:9  */
_ds_load_b64 v[vgprValuB_X2_I1+0:vgprValuB_X2_I1+0+1], v[vgprLocalReadAddrB] offset:2560 // L -> Reg lro=320 swapByteOffset=0 ti=16 vIdx=0 rIdx=0 oIdx=0 buffer=2 iui=1
_ds_load_b64 v[vgprValuA_X2_I1+2:vgprValuA_X2_I1+2+1], v[vgprLocalReadAddrA] offset:20488 // L -> Reg lro=2560 swapByteOffset=0 ti=64 vIdx=0 rIdx=0 oIdx=0 buffer=2 iui=1
v_mfma_f64_16x16x4f64 a[8+0:15+0], v[vgprValuB_X1_I0+0+0+0:vgprValuB_X1_I0+0+0+0+1], v[vgprValuA_X1_I0+2+0+0:vgprValuA_X1_I0+2+0+0+1], a[8:15]
/*  mfmaIndex:10  */
_ds_load_b64 v[vgprValuA_X2_I1+4:vgprValuA_X2_I1+4+1], v[vgprLocalReadAddrA] offset:20992 // L -> Reg lro=2560 swapByteOffset=0 ti=64 vIdx=1 rIdx=0 oIdx=0 buffer=2 iui=1
_ds_load_b64 v[vgprValuA_X2_I1+6:vgprValuA_X2_I1+6+1], v[vgprLocalReadAddrA] offset:21000 // L -> Reg lro=2560 swapByteOffset=0 ti=64 vIdx=1 rIdx=0 oIdx=0 buffer=2 iui=1
/* localReadsVacancy: latencyLeft 1 */
v_mfma_f64_16x16x4f64 a[16+0:23+0], v[vgprValuB_X1_I0+0+0+0:vgprValuB_X1_I0+0+0+0+1], v[vgprValuA_X1_I0+4+0+0:vgprValuA_X1_I0+4+0+0+1], a[16:23]
/*  mfmaIndex:11  */
/* localReadsVacancy: latencyLeft 5 */
_ds_load_b64 v[vgprValuA_X3_I0+0:vgprValuA_X3_I0+0+1], v[vgprLocalReadAddrA] offset:24576 // L -> Reg lro=3072 swapByteOffset=0 ti=64 vIdx=0 rIdx=0 oIdx=0 buffer=3 iui=0
_ds_load_b64 v[vgprValuB_X3_I0+0:vgprValuB_X3_I0+0+1], v[vgprLocalReadAddrB] offset:3072 // L -> Reg lro=384 swapByteOffset=0 ti=16 vIdx=0 rIdx=0 oIdx=0 buffer=3 iui=0
v_mfma_f64_16x16x4f64 a[24+0:31+0], v[vgprValuB_X1_I0+0+0+0:vgprValuB_X1_I0+0+0+0+1], v[vgprValuA_X1_I0+6+0+0:vgprValuA_X1_I0+6+0+0+1], a[24:31]
/*  mfmaIndex:12  */
/* localReadsVacancy: latencyLeft 5 */
_ds_load_b64 v[vgprValuA_X3_I0+2:vgprValuA_X3_I0+2+1], v[vgprLocalReadAddrA] offset:24584 // L -> Reg lro=3072 swapByteOffset=0 ti=64 vIdx=0 rIdx=0 oIdx=0 buffer=3 iui=0
_ds_load_b64 v[vgprValuA_X3_I0+4:vgprValuA_X3_I0+4+1], v[vgprLocalReadAddrA] offset:25088 // L -> Reg lro=3072 swapByteOffset=0 ti=64 vIdx=1 rIdx=0 oIdx=0 buffer=3 iui=0
v_mfma_f64_16x16x4f64 a[0+0:7+0], v[vgprValuB_X1_I1+0+0+0:vgprValuB_X1_I1+0+0+0+1], v[vgprValuA_X1_I1+0+0+0:vgprValuA_X1_I1+0+0+0+1], a[0:7]
/*  mfmaIndex:13  */
/* localReadsVacancy: latencyLeft 5 */
_ds_load_b64 v[vgprValuA_X3_I0+6:vgprValuA_X3_I0+6+1], v[vgprLocalReadAddrA] offset:25096 // L -> Reg lro=3072 swapByteOffset=0 ti=64 vIdx=1 rIdx=0 oIdx=0 buffer=3 iui=0
_ds_load_b64 v[vgprValuA_X3_I1+0:vgprValuA_X3_I1+0+1], v[vgprLocalReadAddrA] offset:28672 // L -> Reg lro=3584 swapByteOffset=0 ti=64 vIdx=0 rIdx=0 oIdx=0 buffer=3 iui=1
v_mfma_f64_16x16x4f64 a[8+0:15+0], v[vgprValuB_X1_I1+0+0+0:vgprValuB_X1_I1+0+0+0+1], v[vgprValuA_X1_I1+2+0+0:vgprValuA_X1_I1+2+0+0+1], a[8:15]
/*  mfmaIndex:14  */
/* localReadsVacancy: latencyLeft 5 */
_ds_load_b64 v[vgprValuB_X3_I1+0:vgprValuB_X3_I1+0+1], v[vgprLocalReadAddrB] offset:3584 // L -> Reg lro=448 swapByteOffset=0 ti=16 vIdx=0 rIdx=0 oIdx=0 buffer=3 iui=1
_ds_load_b64 v[vgprValuA_X3_I1+2:vgprValuA_X3_I1+2+1], v[vgprLocalReadAddrA] offset:28680 // L -> Reg lro=3584 swapByteOffset=0 ti=64 vIdx=0 rIdx=0 oIdx=0 buffer=3 iui=1
v_mfma_f64_16x16x4f64 a[16+0:23+0], v[vgprValuB_X1_I1+0+0+0:vgprValuB_X1_I1+0+0+0+1], v[vgprValuA_X1_I1+4+0+0:vgprValuA_X1_I1+4+0+0+1], a[16:23]
/*  mfmaIndex:15  */
/* localReadsVacancy: latencyLeft 5 */
_ds_load_b64 v[vgprValuA_X3_I1+4:vgprValuA_X3_I1+4+1], v[vgprLocalReadAddrA] offset:29184 // L -> Reg lro=3584 swapByteOffset=0 ti=64 vIdx=1 rIdx=0 oIdx=0 buffer=3 iui=1
_ds_load_b64 v[vgprValuA_X3_I1+6:vgprValuA_X3_I1+6+1], v[vgprLocalReadAddrA] offset:29192 // L -> Reg lro=3584 swapByteOffset=0 ti=64 vIdx=1 rIdx=0 oIdx=0 buffer=3 iui=1
v_mfma_f64_16x16x4f64 a[24+0:31+0], v[vgprValuB_X1_I1+0+0+0:vgprValuB_X1_I1+0+0+0+1], v[vgprValuA_X1_I1+6+0+0:vgprValuA_X1_I1+6+0+0+1], a[24:31]
/* numPrefetchIter=0 */
/* dataAtIterA=0 numReadsIterA=2 skipReadsIterA=1 readsPerIterA=8 */
/* dataAtIterB=0 numReadsIterB=2 skipReadsIterB=1 readsPerIterB=2 */


/* iter 2 (reset local read pointers iteration)  (swap and reset local write pointers iteration)  (swap local read pointers iteration)  */

/*  grEndMfmaIndex:4, lwStartMfmaIndex:19, lwEndMfmaIndex:22  */
/*  numMfmaForLR:7, barrierMfmaIndex:24, LocalWritePerMfma:5.735 */
/*  mfmaIndex:16  */
/* localReadsVacancy: latencyLeft 5 */
s_waitcnt lgkmcnt(10)                              // lgkmcnt=0 vmcnt=-1wait for prior local read local write old=10, new=10 newLW=0 newLR=0
v_mfma_f64_16x16x4f64 a[0+0:7+0], v[vgprValuB_X2_I0+0+0+0:vgprValuB_X2_I0+0+0+0+1], v[vgprValuA_X2_I0+0+0+0:vgprValuA_X2_I0+0+0+0+1], a[0:7]
/*  mfmaIndex:17  */
/* localReadsVacancy: latencyLeft 5 */
v_mfma_f64_16x16x4f64 a[8+0:15+0], v[vgprValuB_X2_I0+0+0+0:vgprValuB_X2_I0+0+0+0+1], v[vgprValuA_X2_I0+2+0+0:vgprValuA_X2_I0+2+0+0+1], a[8:15]
/*  mfmaIndex:18  */
/* localReadsVacancy: latencyLeft 5 */
/* 1 LDS buffer: read-sync-write */
s_waitcnt lgkmcnt(0)                               // 
s_barrier                                          // 
v_mfma_f64_16x16x4f64 a[16+0:23+0], v[vgprValuB_X2_I0+0+0+0:vgprValuB_X2_I0+0+0+0+1], v[vgprValuA_X2_I0+4+0+0:vgprValuA_X2_I0+4+0+0+1], a[16:23]
/*  mfmaIndex:19  */
s_setprio 3                                        // store optimization
/* sched write - iter 2 writesPerItem=2 */
s_waitcnt vmcnt(0)                                 // lgkmcnt=-1 vmcnt=0wait for global read before writing to local
_ds_store_b64 v[vgprLocalWriteAddrA], v[vgprG2LA+0:vgprG2LA+0+1] offset:0 // lwoA_0_0_0_0 = (0 + 0*LSCA)*(MT0I+PAD) + (0*LSPA) = 0
_ds_store_b64 v[vgprLocalWriteAddrA], v[vgprG2LA+2:vgprG2LA+2+1] offset:1024 // lwoA_0_1_0_0 = (1 + 0*LSCA)*(MT0I+PAD) + (0*LSPA) = 1024
/* sched write - iter 2 writesPerItem=2 */
s_waitcnt vmcnt(0)                                 // lgkmcnt=-1 vmcnt=0wait for global read before writing to local
_ds_store_b64 v[vgprLocalWriteAddrA], v[vgprG2LA+4:vgprG2LA+4+1] offset:64 // lwoA_0_0_1_0 = (0 + 0*LSCA)*(MT0I+PAD) + (1*LSPA) = 64
_ds_store_b64 v[vgprLocalWriteAddrA], v[vgprG2LA+6:vgprG2LA+6+1] offset:1088 // lwoA_0_1_1_0 = (1 + 0*LSCA)*(MT0I+PAD) + (1*LSPA) = 1088
/* sched write - iter 2 writesPerItem=2 */
s_waitcnt vmcnt(0)                                 // lgkmcnt=-1 vmcnt=0wait for global read before writing to local
_ds_store_b64 v[vgprLocalWriteAddrA], v[vgprG2LA+8:vgprG2LA+8+1] offset:128 // lwoA_0_0_2_0 = (0 + 0*LSCA)*(MT0I+PAD) + (2*LSPA) = 128
_ds_store_b64 v[vgprLocalWriteAddrA], v[vgprG2LA+10:vgprG2LA+10+1] offset:1152 // lwoA_0_1_2_0 = (1 + 0*LSCA)*(MT0I+PAD) + (2*LSPA) = 1152
/* sched write - iter 2 writesPerItem=2 */
s_waitcnt vmcnt(0)                                 // lgkmcnt=-1 vmcnt=0wait for global read before writing to local
_ds_store_b64 v[vgprLocalWriteAddrA], v[vgprG2LA+12:vgprG2LA+12+1] offset:192 // lwoA_0_0_3_0 = (0 + 0*LSCA)*(MT0I+PAD) + (3*LSPA) = 192
_ds_store_b64 v[vgprLocalWriteAddrA], v[vgprG2LA+14:vgprG2LA+14+1] offset:1216 // lwoA_0_1_3_0 = (1 + 0*LSCA)*(MT0I+PAD) + (3*LSPA) = 1216
/* sched write - iter 2 writesPerItem=2 */
s_waitcnt vmcnt(0)                                 // lgkmcnt=-1 vmcnt=0wait for global read before writing to local
_ds_store_b64 v[vgprLocalWriteAddrA], v[vgprG2LA+16:vgprG2LA+16+1] offset:256 // lwoA_0_0_4_0 = (0 + 0*LSCA)*(MT0I+PAD) + (4*LSPA) = 256
_ds_store_b64 v[vgprLocalWriteAddrA], v[vgprG2LA+18:vgprG2LA+18+1] offset:1280 // lwoA_0_1_4_0 = (1 + 0*LSCA)*(MT0I+PAD) + (4*LSPA) = 1280
/* sched write - iter 2 writesPerItem=2 */
s_waitcnt vmcnt(0)                                 // lgkmcnt=-1 vmcnt=0wait for global read before writing to local
_ds_store_b64 v[vgprLocalWriteAddrA], v[vgprG2LA+20:vgprG2LA+20+1] offset:320 // lwoA_0_0_5_0 = (0 + 0*LSCA)*(MT0I+PAD) + (5*LSPA) = 320
_ds_store_b64 v[vgprLocalWriteAddrA], v[vgprG2LA+22:vgprG2LA+22+1] offset:1344 // lwoA_0_1_5_0 = (1 + 0*LSCA)*(MT0I+PAD) + (5*LSPA) = 1344
v_mfma_f64_16x16x4f64 a[24+0:31+0], v[vgprValuB_X2_I0+0+0+0:vgprValuB_X2_I0+0+0+0+1], v[vgprValuA_X2_I0+6+0+0:vgprValuA_X2_I0+6+0+0+1], a[24:31]
/*  mfmaIndex:20  */
/* sched write - iter 2 writesPerItem=2 */
s_waitcnt vmcnt(0)                                 // lgkmcnt=-1 vmcnt=0wait for global read before writing to local
_ds_store_b64 v[vgprLocalWriteAddrA], v[vgprG2LA+24:vgprG2LA+24+1] offset:384 // lwoA_0_0_6_0 = (0 + 0*LSCA)*(MT0I+PAD) + (6*LSPA) = 384
_ds_store_b64 v[vgprLocalWriteAddrA], v[vgprG2LA+26:vgprG2LA+26+1] offset:1408 // lwoA_0_1_6_0 = (1 + 0*LSCA)*(MT0I+PAD) + (6*LSPA) = 1408
/* sched write - iter 2 writesPerItem=2 */
s_waitcnt vmcnt(0)                                 // lgkmcnt=-1 vmcnt=0wait for global read before writing to local
_ds_store_b64 v[vgprLocalWriteAddrA], v[vgprG2LA+28:vgprG2LA+28+1] offset:448 // lwoA_0_0_7_0 = (0 + 0*LSCA)*(MT0I+PAD) + (7*LSPA) = 448
_ds_store_b64 v[vgprLocalWriteAddrA], v[vgprG2LA+30:vgprG2LA+30+1] offset:1472 // lwoA_0_1_7_0 = (1 + 0*LSCA)*(MT0I+PAD) + (7*LSPA) = 1472
/* sched write - iter 2 writesPerItem=2 */
s_waitcnt vmcnt(0)                                 // lgkmcnt=-1 vmcnt=0wait for global read before writing to local
_ds_store_b64 v[vgprLocalWriteAddrA], v[vgprG2LA+32:vgprG2LA+32+1] offset:512 // lwoA_0_0_8_0 = (0 + 0*LSCA)*(MT0I+PAD) + (8*LSPA) = 512
_ds_store_b64 v[vgprLocalWriteAddrA], v[vgprG2LA+34:vgprG2LA+34+1] offset:1536 // lwoA_0_1_8_0 = (1 + 0*LSCA)*(MT0I+PAD) + (8*LSPA) = 1536
/* sched write - iter 2 writesPerItem=2 */
s_waitcnt vmcnt(0)                                 // lgkmcnt=-1 vmcnt=0wait for global read before writing to local
_ds_store_b64 v[vgprLocalWriteAddrA], v[vgprG2LA+36:vgprG2LA+36+1] offset:576 // lwoA_0_0_9_0 = (0 + 0*LSCA)*(MT0I+PAD) + (9*LSPA) = 576
_ds_store_b64 v[vgprLocalWriteAddrA], v[vgprG2LA+38:vgprG2LA+38+1] offset:1600 // lwoA_0_1_9_0 = (1 + 0*LSCA)*(MT0I+PAD) + (9*LSPA) = 1600
/* sched write - iter 2 writesPerItem=2 */
s_waitcnt vmcnt(0)                                 // lgkmcnt=-1 vmcnt=0wait for global read before writing to local
_ds_store_b64 v[vgprLocalWriteAddrA], v[vgprG2LA+40:vgprG2LA+40+1] offset:640 // lwoA_0_0_10_0 = (0 + 0*LSCA)*(MT0I+PAD) + (10*LSPA) = 640
_ds_store_b64 v[vgprLocalWriteAddrA], v[vgprG2LA+42:vgprG2LA+42+1] offset:1664 // lwoA_0_1_10_0 = (1 + 0*LSCA)*(MT0I+PAD) + (10*LSPA) = 1664
/* sched write - iter 2 writesPerItem=2 */
s_waitcnt vmcnt(0)                                 // lgkmcnt=-1 vmcnt=0wait for global read before writing to local
_ds_store_b64 v[vgprLocalWriteAddrA], v[vgprG2LA+44:vgprG2LA+44+1] offset:704 // lwoA_0_0_11_0 = (0 + 0*LSCA)*(MT0I+PAD) + (11*LSPA) = 704
_ds_store_b64 v[vgprLocalWriteAddrA], v[vgprG2LA+46:vgprG2LA+46+1] offset:1728 // lwoA_0_1_11_0 = (1 + 0*LSCA)*(MT0I+PAD) + (11*LSPA) = 1728
v_mfma_f64_16x16x4f64 a[0+0:7+0], v[vgprValuB_X2_I1+0+0+0:vgprValuB_X2_I1+0+0+0+1], v[vgprValuA_X2_I1+0+0+0:vgprValuA_X2_I1+0+0+0+1], a[0:7]
/*  mfmaIndex:21  */
/* sched write - iter 2 writesPerItem=2 */
s_waitcnt vmcnt(0)                                 // lgkmcnt=-1 vmcnt=0wait for global read before writing to local
_ds_store_b64 v[vgprLocalWriteAddrA], v[vgprG2LA+48:vgprG2LA+48+1] offset:768 // lwoA_0_0_12_0 = (0 + 0*LSCA)*(MT0I+PAD) + (12*LSPA) = 768
_ds_store_b64 v[vgprLocalWriteAddrA], v[vgprG2LA+50:vgprG2LA+50+1] offset:1792 // lwoA_0_1_12_0 = (1 + 0*LSCA)*(MT0I+PAD) + (12*LSPA) = 1792
/* sched write - iter 2 writesPerItem=2 */
s_waitcnt vmcnt(0)                                 // lgkmcnt=-1 vmcnt=0wait for global read before writing to local
_ds_store_b64 v[vgprLocalWriteAddrA], v[vgprG2LA+52:vgprG2LA+52+1] offset:832 // lwoA_0_0_13_0 = (0 + 0*LSCA)*(MT0I+PAD) + (13*LSPA) = 832
_ds_store_b64 v[vgprLocalWriteAddrA], v[vgprG2LA+54:vgprG2LA+54+1] offset:1856 // lwoA_0_1_13_0 = (1 + 0*LSCA)*(MT0I+PAD) + (13*LSPA) = 1856
/* sched write - iter 2 writesPerItem=2 */
s_waitcnt vmcnt(0)                                 // lgkmcnt=-1 vmcnt=0wait for global read before writing to local
_ds_store_b64 v[vgprLocalWriteAddrA], v[vgprG2LA+56:vgprG2LA+56+1] offset:896 // lwoA_0_0_14_0 = (0 + 0*LSCA)*(MT0I+PAD) + (14*LSPA) = 896
_ds_store_b64 v[vgprLocalWriteAddrA], v[vgprG2LA+58:vgprG2LA+58+1] offset:1920 // lwoA_0_1_14_0 = (1 + 0*LSCA)*(MT0I+PAD) + (14*LSPA) = 1920
/* sched write - iter 2 writesPerItem=2 */
s_waitcnt vmcnt(0)                                 // lgkmcnt=-1 vmcnt=0wait for global read before writing to local
_ds_store_b64 v[vgprLocalWriteAddrA], v[vgprG2LA+60:vgprG2LA+60+1] offset:960 // lwoA_0_0_15_0 = (0 + 0*LSCA)*(MT0I+PAD) + (15*LSPA) = 960
_ds_store_b64 v[vgprLocalWriteAddrA], v[vgprG2LA+62:vgprG2LA+62+1] offset:1984 // lwoA_0_1_15_0 = (1 + 0*LSCA)*(MT0I+PAD) + (15*LSPA) = 1984
/* sched write - iter 2 writesPerItem=2 */
s_waitcnt vmcnt(0)                                 // lgkmcnt=-1 vmcnt=0wait for global read before writing to local
_ds_store_b64 v[vgprLocalWriteAddrB], v[vgprG2LB+0:vgprG2LB+0+1] offset:0 // lwoB_0_0_0_0 = (0 + 0*LSCB)*(MT1J+PAD) + (0*LSPB) = 0
_ds_store_b64 v[vgprLocalWriteAddrB], v[vgprG2LB+2:vgprG2LB+2+1] offset:128 // lwoB_0_1_0_0 = (1 + 0*LSCB)*(MT1J+PAD) + (0*LSPB) = 128
/* sched write - iter 2 writesPerItem=2 */
s_waitcnt vmcnt(0)                                 // lgkmcnt=-1 vmcnt=0wait for global read before writing to local
_ds_store_b64 v[vgprLocalWriteAddrB], v[vgprG2LB+4:vgprG2LB+4+1] offset:64 // lwoB_0_0_1_0 = (0 + 0*LSCB)*(MT1J+PAD) + (1*LSPB) = 64
_ds_store_b64 v[vgprLocalWriteAddrB], v[vgprG2LB+6:vgprG2LB+6+1] offset:192 // lwoB_0_1_1_0 = (1 + 0*LSCB)*(MT1J+PAD) + (1*LSPB) = 192
v_mfma_f64_16x16x4f64 a[8+0:15+0], v[vgprValuB_X2_I1+0+0+0:vgprValuB_X2_I1+0+0+0+1], v[vgprValuA_X2_I1+2+0+0:vgprValuA_X2_I1+2+0+0+1], a[8:15]
/*  mfmaIndex:22  */

/* local write swap offsets a */

/* local write swap offsets b */
v_mfma_f64_16x16x4f64 a[16+0:23+0], v[vgprValuB_X2_I1+0+0+0:vgprValuB_X2_I1+0+0+0+1], v[vgprValuA_X2_I1+4+0+0:vgprValuA_X2_I1+4+0+0+1], a[16:23]
/*  mfmaIndex:23  */

/* local read swap offsets a */

/* local read swap offsets b */

/* local read init pointers a */

/* localReadInitPointers */

/* local read init pointers b */

/* localReadInitPointers */
v_mfma_f64_16x16x4f64 a[24+0:31+0], v[vgprValuB_X2_I1+0+0+0:vgprValuB_X2_I1+0+0+0+1], v[vgprValuA_X2_I1+6+0+0:vgprValuA_X2_I1+6+0+0+1], a[24:31]
s_setprio 0                                        // store optimization
/* numPrefetchIter=0 */
/* dataAtIterA=1 numReadsIterA=3 skipReadsIterA=1 readsPerIterA=8 */
/* dataAtIterB=1 numReadsIterB=3 skipReadsIterB=1 readsPerIterB=2 */


/* iter 3 */

/*  grEndMfmaIndex:4, lwStartMfmaIndex:19, lwEndMfmaIndex:22  */
/*  numMfmaForLR:7, barrierMfmaIndex:24, LocalWritePerMfma:5.735 */
/*  mfmaIndex:24  */
s_waitcnt lgkmcnt(0)                               // lgkmcnt=0 vmcnt=-13wait for local write
// Skip force waitcnt0
s_barrier //
v_mfma_f64_16x16x4f64 a[0+0:7+0], v[vgprValuB_X3_I0+0+0+0:vgprValuB_X3_I0+0+0+0+1], v[vgprValuA_X3_I0+0+0+0:vgprValuA_X3_I0+0+0+0+1], a[0:7]
/*  mfmaIndex:25  */
s_setprio 3                                        // store optimization
_ds_load_b64 v[vgprValuA_X0_I0+0:vgprValuA_X0_I0+0+1], v[vgprLocalReadAddrA] offset:0 // L -> Reg lro=0 swapByteOffset=0 ti=64 vIdx=0 rIdx=0 oIdx=0 buffer=0 iui=0
_ds_load_b64 v[vgprValuB_X0_I0+0:vgprValuB_X0_I0+0+1], v[vgprLocalReadAddrB] offset:0 // L -> Reg lro=0 swapByteOffset=0 ti=16 vIdx=0 rIdx=0 oIdx=0 buffer=0 iui=0
v_mfma_f64_16x16x4f64 a[8+0:15+0], v[vgprValuB_X3_I0+0+0+0:vgprValuB_X3_I0+0+0+0+1], v[vgprValuA_X3_I0+2+0+0:vgprValuA_X3_I0+2+0+0+1], a[8:15]
/*  mfmaIndex:26  */
_ds_load_b64 v[vgprValuA_X0_I0+2:vgprValuA_X0_I0+2+1], v[vgprLocalReadAddrA] offset:8 // L -> Reg lro=0 swapByteOffset=0 ti=64 vIdx=0 rIdx=0 oIdx=0 buffer=0 iui=0
_ds_load_b64 v[vgprValuA_X0_I0+4:vgprValuA_X0_I0+4+1], v[vgprLocalReadAddrA] offset:512 // L -> Reg lro=0 swapByteOffset=0 ti=64 vIdx=1 rIdx=0 oIdx=0 buffer=0 iui=0
v_mfma_f64_16x16x4f64 a[16+0:23+0], v[vgprValuB_X3_I0+0+0+0:vgprValuB_X3_I0+0+0+0+1], v[vgprValuA_X3_I0+4+0+0:vgprValuA_X3_I0+4+0+0+1], a[16:23]
/*  mfmaIndex:27  */
_ds_load_b64 v[vgprValuA_X0_I0+6:vgprValuA_X0_I0+6+1], v[vgprLocalReadAddrA] offset:520 // L -> Reg lro=0 swapByteOffset=0 ti=64 vIdx=1 rIdx=0 oIdx=0 buffer=0 iui=0
_ds_load_b64 v[vgprValuA_X0_I1+0:vgprValuA_X0_I1+0+1], v[vgprLocalReadAddrA] offset:4096 // L -> Reg lro=512 swapByteOffset=0 ti=64 vIdx=0 rIdx=0 oIdx=0 buffer=0 iui=1
v_mfma_f64_16x16x4f64 a[24+0:31+0], v[vgprValuB_X3_I0+0+0+0:vgprValuB_X3_I0+0+0+0+1], v[vgprValuA_X3_I0+6+0+0:vgprValuA_X3_I0+6+0+0+1], a[24:31]
/*  mfmaIndex:28  */
_ds_load_b64 v[vgprValuB_X0_I1+0:vgprValuB_X0_I1+0+1], v[vgprLocalReadAddrB] offset:512 // L -> Reg lro=64 swapByteOffset=0 ti=16 vIdx=0 rIdx=0 oIdx=0 buffer=0 iui=1
_ds_load_b64 v[vgprValuA_X0_I1+2:vgprValuA_X0_I1+2+1], v[vgprLocalReadAddrA] offset:4104 // L -> Reg lro=512 swapByteOffset=0 ti=64 vIdx=0 rIdx=0 oIdx=0 buffer=0 iui=1
v_mfma_f64_16x16x4f64 a[0+0:7+0], v[vgprValuB_X3_I1+0+0+0:vgprValuB_X3_I1+0+0+0+1], v[vgprValuA_X3_I1+0+0+0:vgprValuA_X3_I1+0+0+0+1], a[0:7]
/*  mfmaIndex:29  */
_ds_load_b64 v[vgprValuA_X0_I1+4:vgprValuA_X0_I1+4+1], v[vgprLocalReadAddrA] offset:4608 // L -> Reg lro=512 swapByteOffset=0 ti=64 vIdx=1 rIdx=0 oIdx=0 buffer=0 iui=1
_ds_load_b64 v[vgprValuA_X0_I1+6:vgprValuA_X0_I1+6+1], v[vgprLocalReadAddrA] offset:4616 // L -> Reg lro=512 swapByteOffset=0 ti=64 vIdx=1 rIdx=0 oIdx=0 buffer=0 iui=1
v_mfma_f64_16x16x4f64 a[8+0:15+0], v[vgprValuB_X3_I1+0+0+0:vgprValuB_X3_I1+0+0+0+1], v[vgprValuA_X3_I1+2+0+0:vgprValuA_X3_I1+2+0+0+1], a[8:15]
/*  mfmaIndex:30  */
v_mfma_f64_16x16x4f64 a[16+0:23+0], v[vgprValuB_X3_I1+0+0+0:vgprValuB_X3_I1+0+0+0+1], v[vgprValuA_X3_I1+4+0+0:vgprValuA_X3_I1+4+0+0+1], a[16:23]
/*  mfmaIndex:31  */
v_mfma_f64_16x16x4f64 a[24+0:31+0], v[vgprValuB_X3_I1+0+0+0:vgprValuB_X3_I1+0+0+0+1], v[vgprValuA_X3_I1+6+0+0:vgprValuA_X3_I1+6+0+0+1], a[24:31]
s_setprio 0                                        // store optimization

label_0016:


/******************************************/
/* Ord. NoLoadLoop - Begin                                      */
/******************************************/


	;; [unrolled: 1-line block ×4, first 2 shown]
/* iter 0 (last unrolled loop) */

/*  grEndMfmaIndex:0, lwStartMfmaIndex:22, lwEndMfmaIndex:22  */
/*  numMfmaForLR:7, barrierMfmaIndex:24, LocalWritePerMfma:5.735 */
/*  mfmaIndex:0  */
s_waitcnt lgkmcnt(0)                               // lgkmcnt=0 vmcnt=-1wait for prior local read local write old=0, new=0 newLW=0 newLR=0
v_mfma_f64_16x16x4f64 a[0+0:7+0], v[vgprValuB_X0_I0+0+0+0:vgprValuB_X0_I0+0+0+0+1], v[vgprValuA_X0_I0+0+0+0:vgprValuA_X0_I0+0+0+0+1], a[0:7]
/*  mfmaIndex:1  */
_ds_load_b64 v[vgprValuA_X1_I0+0:vgprValuA_X1_I0+0+1], v[vgprLocalReadAddrA] offset:8192 // L -> Reg lro=1024 swapByteOffset=0 ti=64 vIdx=0 rIdx=0 oIdx=0 buffer=1 iui=0
_ds_load_b64 v[vgprValuB_X1_I0+0:vgprValuB_X1_I0+0+1], v[vgprLocalReadAddrB] offset:1024 // L -> Reg lro=128 swapByteOffset=0 ti=16 vIdx=0 rIdx=0 oIdx=0 buffer=1 iui=0
v_mfma_f64_16x16x4f64 a[8+0:15+0], v[vgprValuB_X0_I0+0+0+0:vgprValuB_X0_I0+0+0+0+1], v[vgprValuA_X0_I0+2+0+0:vgprValuA_X0_I0+2+0+0+1], a[8:15]
/*  mfmaIndex:2  */
_ds_load_b64 v[vgprValuA_X1_I0+2:vgprValuA_X1_I0+2+1], v[vgprLocalReadAddrA] offset:8200 // L -> Reg lro=1024 swapByteOffset=0 ti=64 vIdx=0 rIdx=0 oIdx=0 buffer=1 iui=0
_ds_load_b64 v[vgprValuA_X1_I0+4:vgprValuA_X1_I0+4+1], v[vgprLocalReadAddrA] offset:8704 // L -> Reg lro=1024 swapByteOffset=0 ti=64 vIdx=1 rIdx=0 oIdx=0 buffer=1 iui=0
v_mfma_f64_16x16x4f64 a[16+0:23+0], v[vgprValuB_X0_I0+0+0+0:vgprValuB_X0_I0+0+0+0+1], v[vgprValuA_X0_I0+4+0+0:vgprValuA_X0_I0+4+0+0+1], a[16:23]
/*  mfmaIndex:3  */
_ds_load_b64 v[vgprValuA_X1_I0+6:vgprValuA_X1_I0+6+1], v[vgprLocalReadAddrA] offset:8712 // L -> Reg lro=1024 swapByteOffset=0 ti=64 vIdx=1 rIdx=0 oIdx=0 buffer=1 iui=0
_ds_load_b64 v[vgprValuA_X1_I1+0:vgprValuA_X1_I1+0+1], v[vgprLocalReadAddrA] offset:12288 // L -> Reg lro=1536 swapByteOffset=0 ti=64 vIdx=0 rIdx=0 oIdx=0 buffer=1 iui=1
v_mfma_f64_16x16x4f64 a[24+0:31+0], v[vgprValuB_X0_I0+0+0+0:vgprValuB_X0_I0+0+0+0+1], v[vgprValuA_X0_I0+6+0+0:vgprValuA_X0_I0+6+0+0+1], a[24:31]
/*  mfmaIndex:4  */
_ds_load_b64 v[vgprValuB_X1_I1+0:vgprValuB_X1_I1+0+1], v[vgprLocalReadAddrB] offset:1536 // L -> Reg lro=192 swapByteOffset=0 ti=16 vIdx=0 rIdx=0 oIdx=0 buffer=1 iui=1
_ds_load_b64 v[vgprValuA_X1_I1+2:vgprValuA_X1_I1+2+1], v[vgprLocalReadAddrA] offset:12296 // L -> Reg lro=1536 swapByteOffset=0 ti=64 vIdx=0 rIdx=0 oIdx=0 buffer=1 iui=1
v_mfma_f64_16x16x4f64 a[0+0:7+0], v[vgprValuB_X0_I1+0+0+0:vgprValuB_X0_I1+0+0+0+1], v[vgprValuA_X0_I1+0+0+0:vgprValuA_X0_I1+0+0+0+1], a[0:7]
/*  mfmaIndex:5  */
_ds_load_b64 v[vgprValuA_X1_I1+4:vgprValuA_X1_I1+4+1], v[vgprLocalReadAddrA] offset:12800 // L -> Reg lro=1536 swapByteOffset=0 ti=64 vIdx=1 rIdx=0 oIdx=0 buffer=1 iui=1
_ds_load_b64 v[vgprValuA_X1_I1+6:vgprValuA_X1_I1+6+1], v[vgprLocalReadAddrA] offset:12808 // L -> Reg lro=1536 swapByteOffset=0 ti=64 vIdx=1 rIdx=0 oIdx=0 buffer=1 iui=1
/* localReadsVacancy: latencyLeft 1 */
v_mfma_f64_16x16x4f64 a[8+0:15+0], v[vgprValuB_X0_I1+0+0+0:vgprValuB_X0_I1+0+0+0+1], v[vgprValuA_X0_I1+2+0+0:vgprValuA_X0_I1+2+0+0+1], a[8:15]
/*  mfmaIndex:6  */
/* localReadsVacancy: latencyLeft 5 */
_ds_load_b64 v[vgprValuA_X2_I0+0:vgprValuA_X2_I0+0+1], v[vgprLocalReadAddrA] offset:16384 // L -> Reg lro=2048 swapByteOffset=0 ti=64 vIdx=0 rIdx=0 oIdx=0 buffer=2 iui=0
_ds_load_b64 v[vgprValuB_X2_I0+0:vgprValuB_X2_I0+0+1], v[vgprLocalReadAddrB] offset:2048 // L -> Reg lro=256 swapByteOffset=0 ti=16 vIdx=0 rIdx=0 oIdx=0 buffer=2 iui=0
v_mfma_f64_16x16x4f64 a[16+0:23+0], v[vgprValuB_X0_I1+0+0+0:vgprValuB_X0_I1+0+0+0+1], v[vgprValuA_X0_I1+4+0+0:vgprValuA_X0_I1+4+0+0+1], a[16:23]
/*  mfmaIndex:7  */
/* localReadsVacancy: latencyLeft 5 */
_ds_load_b64 v[vgprValuA_X2_I0+2:vgprValuA_X2_I0+2+1], v[vgprLocalReadAddrA] offset:16392 // L -> Reg lro=2048 swapByteOffset=0 ti=64 vIdx=0 rIdx=0 oIdx=0 buffer=2 iui=0
_ds_load_b64 v[vgprValuA_X2_I0+4:vgprValuA_X2_I0+4+1], v[vgprLocalReadAddrA] offset:16896 // L -> Reg lro=2048 swapByteOffset=0 ti=64 vIdx=1 rIdx=0 oIdx=0 buffer=2 iui=0
v_mfma_f64_16x16x4f64 a[24+0:31+0], v[vgprValuB_X0_I1+0+0+0:vgprValuB_X0_I1+0+0+0+1], v[vgprValuA_X0_I1+6+0+0:vgprValuA_X0_I1+6+0+0+1], a[24:31]
/* numPrefetchIter=0 */
/* dataAtIterA=-1 numReadsIterA=1 skipReadsIterA=1 readsPerIterA=8 */
/* dataAtIterB=-1 numReadsIterB=1 skipReadsIterB=1 readsPerIterB=2 */


/* iter 1 (last unrolled loop) */

/*  grEndMfmaIndex:0, lwStartMfmaIndex:22, lwEndMfmaIndex:22  */
/*  numMfmaForLR:7, barrierMfmaIndex:24, LocalWritePerMfma:5.735 */
/*  mfmaIndex:8  */
_ds_load_b64 v[vgprValuA_X2_I0+6:vgprValuA_X2_I0+6+1], v[vgprLocalReadAddrA] offset:16904 // L -> Reg lro=2048 swapByteOffset=0 ti=64 vIdx=1 rIdx=0 oIdx=0 buffer=2 iui=0
_ds_load_b64 v[vgprValuA_X2_I1+0:vgprValuA_X2_I1+0+1], v[vgprLocalReadAddrA] offset:20480 // L -> Reg lro=2560 swapByteOffset=0 ti=64 vIdx=0 rIdx=0 oIdx=0 buffer=2 iui=1
s_waitcnt lgkmcnt(6)                               // lgkmcnt=0 vmcnt=-1wait for prior local read local write old=4, new=6 newLW=0 newLR=2
v_mfma_f64_16x16x4f64 a[0+0:7+0], v[vgprValuB_X1_I0+0+0+0:vgprValuB_X1_I0+0+0+0+1], v[vgprValuA_X1_I0+0+0+0:vgprValuA_X1_I0+0+0+0+1], a[0:7]
/*  mfmaIndex:9  */
_ds_load_b64 v[vgprValuB_X2_I1+0:vgprValuB_X2_I1+0+1], v[vgprLocalReadAddrB] offset:2560 // L -> Reg lro=320 swapByteOffset=0 ti=16 vIdx=0 rIdx=0 oIdx=0 buffer=2 iui=1
_ds_load_b64 v[vgprValuA_X2_I1+2:vgprValuA_X2_I1+2+1], v[vgprLocalReadAddrA] offset:20488 // L -> Reg lro=2560 swapByteOffset=0 ti=64 vIdx=0 rIdx=0 oIdx=0 buffer=2 iui=1
v_mfma_f64_16x16x4f64 a[8+0:15+0], v[vgprValuB_X1_I0+0+0+0:vgprValuB_X1_I0+0+0+0+1], v[vgprValuA_X1_I0+2+0+0:vgprValuA_X1_I0+2+0+0+1], a[8:15]
/*  mfmaIndex:10  */
_ds_load_b64 v[vgprValuA_X2_I1+4:vgprValuA_X2_I1+4+1], v[vgprLocalReadAddrA] offset:20992 // L -> Reg lro=2560 swapByteOffset=0 ti=64 vIdx=1 rIdx=0 oIdx=0 buffer=2 iui=1
_ds_load_b64 v[vgprValuA_X2_I1+6:vgprValuA_X2_I1+6+1], v[vgprLocalReadAddrA] offset:21000 // L -> Reg lro=2560 swapByteOffset=0 ti=64 vIdx=1 rIdx=0 oIdx=0 buffer=2 iui=1
/* localReadsVacancy: latencyLeft 1 */
v_mfma_f64_16x16x4f64 a[16+0:23+0], v[vgprValuB_X1_I0+0+0+0:vgprValuB_X1_I0+0+0+0+1], v[vgprValuA_X1_I0+4+0+0:vgprValuA_X1_I0+4+0+0+1], a[16:23]
/*  mfmaIndex:11  */
/* localReadsVacancy: latencyLeft 5 */
_ds_load_b64 v[vgprValuA_X3_I0+0:vgprValuA_X3_I0+0+1], v[vgprLocalReadAddrA] offset:24576 // L -> Reg lro=3072 swapByteOffset=0 ti=64 vIdx=0 rIdx=0 oIdx=0 buffer=3 iui=0
_ds_load_b64 v[vgprValuB_X3_I0+0:vgprValuB_X3_I0+0+1], v[vgprLocalReadAddrB] offset:3072 // L -> Reg lro=384 swapByteOffset=0 ti=16 vIdx=0 rIdx=0 oIdx=0 buffer=3 iui=0
v_mfma_f64_16x16x4f64 a[24+0:31+0], v[vgprValuB_X1_I0+0+0+0:vgprValuB_X1_I0+0+0+0+1], v[vgprValuA_X1_I0+6+0+0:vgprValuA_X1_I0+6+0+0+1], a[24:31]
/*  mfmaIndex:12  */
/* localReadsVacancy: latencyLeft 5 */
_ds_load_b64 v[vgprValuA_X3_I0+2:vgprValuA_X3_I0+2+1], v[vgprLocalReadAddrA] offset:24584 // L -> Reg lro=3072 swapByteOffset=0 ti=64 vIdx=0 rIdx=0 oIdx=0 buffer=3 iui=0
_ds_load_b64 v[vgprValuA_X3_I0+4:vgprValuA_X3_I0+4+1], v[vgprLocalReadAddrA] offset:25088 // L -> Reg lro=3072 swapByteOffset=0 ti=64 vIdx=1 rIdx=0 oIdx=0 buffer=3 iui=0
v_mfma_f64_16x16x4f64 a[0+0:7+0], v[vgprValuB_X1_I1+0+0+0:vgprValuB_X1_I1+0+0+0+1], v[vgprValuA_X1_I1+0+0+0:vgprValuA_X1_I1+0+0+0+1], a[0:7]
/*  mfmaIndex:13  */
/* localReadsVacancy: latencyLeft 5 */
_ds_load_b64 v[vgprValuA_X3_I0+6:vgprValuA_X3_I0+6+1], v[vgprLocalReadAddrA] offset:25096 // L -> Reg lro=3072 swapByteOffset=0 ti=64 vIdx=1 rIdx=0 oIdx=0 buffer=3 iui=0
_ds_load_b64 v[vgprValuA_X3_I1+0:vgprValuA_X3_I1+0+1], v[vgprLocalReadAddrA] offset:28672 // L -> Reg lro=3584 swapByteOffset=0 ti=64 vIdx=0 rIdx=0 oIdx=0 buffer=3 iui=1
v_mfma_f64_16x16x4f64 a[8+0:15+0], v[vgprValuB_X1_I1+0+0+0:vgprValuB_X1_I1+0+0+0+1], v[vgprValuA_X1_I1+2+0+0:vgprValuA_X1_I1+2+0+0+1], a[8:15]
/*  mfmaIndex:14  */
/* localReadsVacancy: latencyLeft 5 */
_ds_load_b64 v[vgprValuB_X3_I1+0:vgprValuB_X3_I1+0+1], v[vgprLocalReadAddrB] offset:3584 // L -> Reg lro=448 swapByteOffset=0 ti=16 vIdx=0 rIdx=0 oIdx=0 buffer=3 iui=1
_ds_load_b64 v[vgprValuA_X3_I1+2:vgprValuA_X3_I1+2+1], v[vgprLocalReadAddrA] offset:28680 // L -> Reg lro=3584 swapByteOffset=0 ti=64 vIdx=0 rIdx=0 oIdx=0 buffer=3 iui=1
v_mfma_f64_16x16x4f64 a[16+0:23+0], v[vgprValuB_X1_I1+0+0+0:vgprValuB_X1_I1+0+0+0+1], v[vgprValuA_X1_I1+4+0+0:vgprValuA_X1_I1+4+0+0+1], a[16:23]
/*  mfmaIndex:15  */
/* localReadsVacancy: latencyLeft 5 */
_ds_load_b64 v[vgprValuA_X3_I1+4:vgprValuA_X3_I1+4+1], v[vgprLocalReadAddrA] offset:29184 // L -> Reg lro=3584 swapByteOffset=0 ti=64 vIdx=1 rIdx=0 oIdx=0 buffer=3 iui=1
_ds_load_b64 v[vgprValuA_X3_I1+6:vgprValuA_X3_I1+6+1], v[vgprLocalReadAddrA] offset:29192 // L -> Reg lro=3584 swapByteOffset=0 ti=64 vIdx=1 rIdx=0 oIdx=0 buffer=3 iui=1
v_mfma_f64_16x16x4f64 a[24+0:31+0], v[vgprValuB_X1_I1+0+0+0:vgprValuB_X1_I1+0+0+0+1], v[vgprValuA_X1_I1+6+0+0:vgprValuA_X1_I1+6+0+0+1], a[24:31]
/* numPrefetchIter=0 */
/* dataAtIterA=0 numReadsIterA=2 skipReadsIterA=1 readsPerIterA=8 */
/* dataAtIterB=0 numReadsIterB=2 skipReadsIterB=1 readsPerIterB=2 */


/* iter 2 (last unrolled loop) */

/*  grEndMfmaIndex:0, lwStartMfmaIndex:22, lwEndMfmaIndex:22  */
/*  numMfmaForLR:7, barrierMfmaIndex:24, LocalWritePerMfma:5.735 */
/*  mfmaIndex:16  */
/* localReadsVacancy: latencyLeft 5 */
s_waitcnt lgkmcnt(10)                              // lgkmcnt=0 vmcnt=-1wait for prior local read local write old=10, new=10 newLW=0 newLR=0
v_mfma_f64_16x16x4f64 a[0+0:7+0], v[vgprValuB_X2_I0+0+0+0:vgprValuB_X2_I0+0+0+0+1], v[vgprValuA_X2_I0+0+0+0:vgprValuA_X2_I0+0+0+0+1], a[0:7]
/*  mfmaIndex:17  */
/* localReadsVacancy: latencyLeft 5 */
v_mfma_f64_16x16x4f64 a[8+0:15+0], v[vgprValuB_X2_I0+0+0+0:vgprValuB_X2_I0+0+0+0+1], v[vgprValuA_X2_I0+2+0+0:vgprValuA_X2_I0+2+0+0+1], a[8:15]
/*  mfmaIndex:18  */
/* localReadsVacancy: latencyLeft 5 */
	;; [unrolled: 3-line block ×4, first 2 shown]
v_mfma_f64_16x16x4f64 a[0+0:7+0], v[vgprValuB_X2_I1+0+0+0:vgprValuB_X2_I1+0+0+0+1], v[vgprValuA_X2_I1+0+0+0:vgprValuA_X2_I1+0+0+0+1], a[0:7]
/*  mfmaIndex:21  */
/* localReadsVacancy: latencyLeft 5 */
/* 1 LDS buffer: read-sync-write */
s_waitcnt lgkmcnt(0)                               // 
s_barrier                                          // 
v_mfma_f64_16x16x4f64 a[8+0:15+0], v[vgprValuB_X2_I1+0+0+0:vgprValuB_X2_I1+0+0+0+1], v[vgprValuA_X2_I1+2+0+0:vgprValuA_X2_I1+2+0+0+1], a[8:15]
/*  mfmaIndex:22  */
/* localReadsVacancy: latencyLeft 5 */
s_setprio 3                                        // store optimization
v_mfma_f64_16x16x4f64 a[16+0:23+0], v[vgprValuB_X2_I1+0+0+0:vgprValuB_X2_I1+0+0+0+1], v[vgprValuA_X2_I1+4+0+0:vgprValuA_X2_I1+4+0+0+1], a[16:23]
/*  mfmaIndex:23  */
v_mfma_f64_16x16x4f64 a[24+0:31+0], v[vgprValuB_X2_I1+0+0+0:vgprValuB_X2_I1+0+0+0+1], v[vgprValuA_X2_I1+6+0+0:vgprValuA_X2_I1+6+0+0+1], a[24:31]
s_setprio 0                                        // store optimization
/* numPrefetchIter=0 */
/* dataAtIterA=1 numReadsIterA=3 skipReadsIterA=1 readsPerIterA=8 */
/* dataAtIterB=1 numReadsIterB=3 skipReadsIterB=1 readsPerIterB=2 */


/* iter 3 (last unrolled loop) */

/*  grEndMfmaIndex:0, lwStartMfmaIndex:22, lwEndMfmaIndex:22  */
/*  numMfmaForLR:7, barrierMfmaIndex:24, LocalWritePerMfma:5.735 */
/*  mfmaIndex:24  */
v_mfma_f64_16x16x4f64 a[0+0:7+0], v[vgprValuB_X3_I0+0+0+0:vgprValuB_X3_I0+0+0+0+1], v[vgprValuA_X3_I0+0+0+0:vgprValuA_X3_I0+0+0+0+1], a[0:7]
/*  mfmaIndex:25  */
s_setprio 3                                        // store optimization
v_mfma_f64_16x16x4f64 a[8+0:15+0], v[vgprValuB_X3_I0+0+0+0:vgprValuB_X3_I0+0+0+0+1], v[vgprValuA_X3_I0+2+0+0:vgprValuA_X3_I0+2+0+0+1], a[8:15]
/*  mfmaIndex:26  */
v_mfma_f64_16x16x4f64 a[16+0:23+0], v[vgprValuB_X3_I0+0+0+0:vgprValuB_X3_I0+0+0+0+1], v[vgprValuA_X3_I0+4+0+0:vgprValuA_X3_I0+4+0+0+1], a[16:23]
/*  mfmaIndex:27  */
	;; [unrolled: 2-line block ×3, first 2 shown]
v_mfma_f64_16x16x4f64 a[0+0:7+0], v[vgprValuB_X3_I1+0+0+0:vgprValuB_X3_I1+0+0+0+1], v[vgprValuA_X3_I1+0+0+0:vgprValuA_X3_I1+0+0+0+1], a[0:7]
/*  mfmaIndex:29  */
v_mfma_f64_16x16x4f64 a[8+0:15+0], v[vgprValuB_X3_I1+0+0+0:vgprValuB_X3_I1+0+0+0+1], v[vgprValuA_X3_I1+2+0+0:vgprValuA_X3_I1+2+0+0+1], a[8:15]
/*  mfmaIndex:30  */
	;; [unrolled: 2-line block ×3, first 2 shown]
v_mfma_f64_16x16x4f64 a[24+0:31+0], v[vgprValuB_X3_I1+0+0+0:vgprValuB_X3_I1+0+0+0+1], v[vgprValuA_X3_I1+6+0+0:vgprValuA_X3_I1+6+0+0+1], a[24:31]

PrefetchGlobalLastIterEnd_5:


/******************************************/
/* Tail Loop                              */
/******************************************/


/* local write reset offsets a */


	;; [unrolled: 1-line block ×3, first 2 shown]
/* local write reset offsets b */


	;; [unrolled: 1-line block ×3, first 2 shown]
//numIterL = (((sizeL % LOCAL_DEPTHU) + LOCAL_SPLITU - 1) / LOCAL_SPLITU)
s_and_b32 s[sgprLoopCounterL], 31, s[sgprSizesSum+0] // s[sgprLoopCounterL] = s[sgprSizesSum+0] % 32
s_cmp_lg_u32 s[sgprGSUSumIdx], s[sgprGSUSumIdx+1]  // gsuSumIdx == numIterPerWgRemainder
s_cmov_b32 s[sgprLoopCounterL], 0x0                // numIter=0 if gsuSumIdx!=remainder
s_cmp_eq_u32 s[sgprLoopCounterL], 0x0              // numIterL == 0
s_cbranch_scc1 SkipTailLoopL_8                     // skip to end of tail loop b/c numIter==0
s_mov_b32 s[sgprOrigLoopCounter], 0                // repurpose to count each localRead increment


/* Update M0 for DTLDS */


	;; [unrolled: 1-line block ×3, first 2 shown]
/* global read a */

/* g2l=0, load component 0 */
_buffer_load_b64 v[vgprG2LA+0+0:vgprG2LA+0+0+1], v[vgprGlobalReadOffsetA+0], s[sgprSrdA:sgprSrdA+3], 0, offen offset:0 // load one buffer value
/* g2l=0, load component 1 */
_buffer_load_b64 v[vgprG2LA+0+2:vgprG2LA+0+2+1], v[vgprGlobalReadOffsetA+0], s[sgprSrdA:sgprSrdA+3], 0, offen offset:8 // load one buffer value
/* g2l=4, load component 0 */
_buffer_load_b64 v[vgprG2LA+4+0:vgprG2LA+4+0+1], v[vgprGlobalReadOffsetA+0], s[sgprSrdA:sgprSrdA+3], s[sgprScalarGlobalReadOffsetA+0], offen offset:0 // load one buffer value
/* g2l=4, load component 1 */
_buffer_load_b64 v[vgprG2LA+4+2:vgprG2LA+4+2+1], v[vgprGlobalReadOffsetA+0], s[sgprSrdA:sgprSrdA+3], s[sgprScalarGlobalReadOffsetA+0], offen offset:8 // load one buffer value
	;; [unrolled: 2-line block ×30, first 2 shown]


/* Update M0 for DTLDS */


	;; [unrolled: 1-line block ×3, first 2 shown]
/* global read b */

/* g2l=0, load component 0 */
_buffer_load_b64 v[vgprG2LB+0+0:vgprG2LB+0+0+1], v[vgprGlobalReadOffsetB+0], s[sgprSrdB:sgprSrdB+3], 0, offen offset:0 // load one buffer value
/* g2l=0, load component 1 */
_buffer_load_b64 v[vgprG2LB+0+2:vgprG2LB+0+2+1], v[vgprGlobalReadOffsetB+0], s[sgprSrdB:sgprSrdB+3], 0, offen offset:8 // load one buffer value
/* g2l=4, load component 0 */
_buffer_load_b64 v[vgprG2LB+4+0:vgprG2LB+4+0+1], v[vgprGlobalReadOffsetB+0], s[sgprSrdB:sgprSrdB+3], s[sgprScalarGlobalReadOffsetB+0], offen offset:0 // load one buffer value
/* g2l=4, load component 1 */
_buffer_load_b64 v[vgprG2LB+4+2:vgprG2LB+4+2+1], v[vgprGlobalReadOffsetB+0], s[sgprSrdB:sgprSrdB+3], s[sgprScalarGlobalReadOffsetB+0], offen offset:8 // load one buffer value

s_waitcnt vmcnt(0)                                 // lgkmcnt=-1 vmcnt=02wait for global read

// Skip force waitcnt0
s_barrier //


/* Done global A/B reads */


	;; [unrolled: 1-line block ×4, first 2 shown]
/* local write a */

_ds_store_b64 v[vgprLocalWriteAddrA], v[vgprG2LA+0:vgprG2LA+0+1] offset:0 // lwoA_0_0_0_0 = (0 + 0*LSCA)*(MT0I+PAD) + (0*LSPA) = 0
_ds_store_b64 v[vgprLocalWriteAddrA], v[vgprG2LA+2:vgprG2LA+2+1] offset:1024 // lwoA_0_1_0_0 = (1 + 0*LSCA)*(MT0I+PAD) + (0*LSPA) = 1024
_ds_store_b64 v[vgprLocalWriteAddrA], v[vgprG2LA+4:vgprG2LA+4+1] offset:64 // lwoA_0_0_1_0 = (0 + 0*LSCA)*(MT0I+PAD) + (1*LSPA) = 64
_ds_store_b64 v[vgprLocalWriteAddrA], v[vgprG2LA+6:vgprG2LA+6+1] offset:1088 // lwoA_0_1_1_0 = (1 + 0*LSCA)*(MT0I+PAD) + (1*LSPA) = 1088
_ds_store_b64 v[vgprLocalWriteAddrA], v[vgprG2LA+8:vgprG2LA+8+1] offset:128 // lwoA_0_0_2_0 = (0 + 0*LSCA)*(MT0I+PAD) + (2*LSPA) = 128
_ds_store_b64 v[vgprLocalWriteAddrA], v[vgprG2LA+10:vgprG2LA+10+1] offset:1152 // lwoA_0_1_2_0 = (1 + 0*LSCA)*(MT0I+PAD) + (2*LSPA) = 1152
_ds_store_b64 v[vgprLocalWriteAddrA], v[vgprG2LA+12:vgprG2LA+12+1] offset:192 // lwoA_0_0_3_0 = (0 + 0*LSCA)*(MT0I+PAD) + (3*LSPA) = 192
_ds_store_b64 v[vgprLocalWriteAddrA], v[vgprG2LA+14:vgprG2LA+14+1] offset:1216 // lwoA_0_1_3_0 = (1 + 0*LSCA)*(MT0I+PAD) + (3*LSPA) = 1216
_ds_store_b64 v[vgprLocalWriteAddrA], v[vgprG2LA+16:vgprG2LA+16+1] offset:256 // lwoA_0_0_4_0 = (0 + 0*LSCA)*(MT0I+PAD) + (4*LSPA) = 256
_ds_store_b64 v[vgprLocalWriteAddrA], v[vgprG2LA+18:vgprG2LA+18+1] offset:1280 // lwoA_0_1_4_0 = (1 + 0*LSCA)*(MT0I+PAD) + (4*LSPA) = 1280
_ds_store_b64 v[vgprLocalWriteAddrA], v[vgprG2LA+20:vgprG2LA+20+1] offset:320 // lwoA_0_0_5_0 = (0 + 0*LSCA)*(MT0I+PAD) + (5*LSPA) = 320
_ds_store_b64 v[vgprLocalWriteAddrA], v[vgprG2LA+22:vgprG2LA+22+1] offset:1344 // lwoA_0_1_5_0 = (1 + 0*LSCA)*(MT0I+PAD) + (5*LSPA) = 1344
_ds_store_b64 v[vgprLocalWriteAddrA], v[vgprG2LA+24:vgprG2LA+24+1] offset:384 // lwoA_0_0_6_0 = (0 + 0*LSCA)*(MT0I+PAD) + (6*LSPA) = 384
_ds_store_b64 v[vgprLocalWriteAddrA], v[vgprG2LA+26:vgprG2LA+26+1] offset:1408 // lwoA_0_1_6_0 = (1 + 0*LSCA)*(MT0I+PAD) + (6*LSPA) = 1408
_ds_store_b64 v[vgprLocalWriteAddrA], v[vgprG2LA+28:vgprG2LA+28+1] offset:448 // lwoA_0_0_7_0 = (0 + 0*LSCA)*(MT0I+PAD) + (7*LSPA) = 448
_ds_store_b64 v[vgprLocalWriteAddrA], v[vgprG2LA+30:vgprG2LA+30+1] offset:1472 // lwoA_0_1_7_0 = (1 + 0*LSCA)*(MT0I+PAD) + (7*LSPA) = 1472
_ds_store_b64 v[vgprLocalWriteAddrA], v[vgprG2LA+32:vgprG2LA+32+1] offset:512 // lwoA_0_0_8_0 = (0 + 0*LSCA)*(MT0I+PAD) + (8*LSPA) = 512
_ds_store_b64 v[vgprLocalWriteAddrA], v[vgprG2LA+34:vgprG2LA+34+1] offset:1536 // lwoA_0_1_8_0 = (1 + 0*LSCA)*(MT0I+PAD) + (8*LSPA) = 1536
_ds_store_b64 v[vgprLocalWriteAddrA], v[vgprG2LA+36:vgprG2LA+36+1] offset:576 // lwoA_0_0_9_0 = (0 + 0*LSCA)*(MT0I+PAD) + (9*LSPA) = 576
_ds_store_b64 v[vgprLocalWriteAddrA], v[vgprG2LA+38:vgprG2LA+38+1] offset:1600 // lwoA_0_1_9_0 = (1 + 0*LSCA)*(MT0I+PAD) + (9*LSPA) = 1600
_ds_store_b64 v[vgprLocalWriteAddrA], v[vgprG2LA+40:vgprG2LA+40+1] offset:640 // lwoA_0_0_10_0 = (0 + 0*LSCA)*(MT0I+PAD) + (10*LSPA) = 640
_ds_store_b64 v[vgprLocalWriteAddrA], v[vgprG2LA+42:vgprG2LA+42+1] offset:1664 // lwoA_0_1_10_0 = (1 + 0*LSCA)*(MT0I+PAD) + (10*LSPA) = 1664
_ds_store_b64 v[vgprLocalWriteAddrA], v[vgprG2LA+44:vgprG2LA+44+1] offset:704 // lwoA_0_0_11_0 = (0 + 0*LSCA)*(MT0I+PAD) + (11*LSPA) = 704
_ds_store_b64 v[vgprLocalWriteAddrA], v[vgprG2LA+46:vgprG2LA+46+1] offset:1728 // lwoA_0_1_11_0 = (1 + 0*LSCA)*(MT0I+PAD) + (11*LSPA) = 1728
_ds_store_b64 v[vgprLocalWriteAddrA], v[vgprG2LA+48:vgprG2LA+48+1] offset:768 // lwoA_0_0_12_0 = (0 + 0*LSCA)*(MT0I+PAD) + (12*LSPA) = 768
_ds_store_b64 v[vgprLocalWriteAddrA], v[vgprG2LA+50:vgprG2LA+50+1] offset:1792 // lwoA_0_1_12_0 = (1 + 0*LSCA)*(MT0I+PAD) + (12*LSPA) = 1792
_ds_store_b64 v[vgprLocalWriteAddrA], v[vgprG2LA+52:vgprG2LA+52+1] offset:832 // lwoA_0_0_13_0 = (0 + 0*LSCA)*(MT0I+PAD) + (13*LSPA) = 832
_ds_store_b64 v[vgprLocalWriteAddrA], v[vgprG2LA+54:vgprG2LA+54+1] offset:1856 // lwoA_0_1_13_0 = (1 + 0*LSCA)*(MT0I+PAD) + (13*LSPA) = 1856
_ds_store_b64 v[vgprLocalWriteAddrA], v[vgprG2LA+56:vgprG2LA+56+1] offset:896 // lwoA_0_0_14_0 = (0 + 0*LSCA)*(MT0I+PAD) + (14*LSPA) = 896
_ds_store_b64 v[vgprLocalWriteAddrA], v[vgprG2LA+58:vgprG2LA+58+1] offset:1920 // lwoA_0_1_14_0 = (1 + 0*LSCA)*(MT0I+PAD) + (14*LSPA) = 1920
_ds_store_b64 v[vgprLocalWriteAddrA], v[vgprG2LA+60:vgprG2LA+60+1] offset:960 // lwoA_0_0_15_0 = (0 + 0*LSCA)*(MT0I+PAD) + (15*LSPA) = 960
_ds_store_b64 v[vgprLocalWriteAddrA], v[vgprG2LA+62:vgprG2LA+62+1] offset:1984 // lwoA_0_1_15_0 = (1 + 0*LSCA)*(MT0I+PAD) + (15*LSPA) = 1984


/* local write b */

_ds_store_b64 v[vgprLocalWriteAddrB], v[vgprG2LB+0:vgprG2LB+0+1] offset:0 // lwoB_0_0_0_0 = (0 + 0*LSCB)*(MT1J+PAD) + (0*LSPB) = 0
_ds_store_b64 v[vgprLocalWriteAddrB], v[vgprG2LB+2:vgprG2LB+2+1] offset:128 // lwoB_0_1_0_0 = (1 + 0*LSCB)*(MT1J+PAD) + (0*LSPB) = 128
_ds_store_b64 v[vgprLocalWriteAddrB], v[vgprG2LB+4:vgprG2LB+4+1] offset:64 // lwoB_0_0_1_0 = (0 + 0*LSCB)*(MT1J+PAD) + (1*LSPB) = 64
_ds_store_b64 v[vgprLocalWriteAddrB], v[vgprG2LB+6:vgprG2LB+6+1] offset:192 // lwoB_0_1_1_0 = (1 + 0*LSCB)*(MT1J+PAD) + (1*LSPB) = 192


/* Recalc local read offsets */


s_waitcnt lgkmcnt(0)                               // lgkmcnt=0 vmcnt=-15wait for local write

// Skip force waitcnt0
s_barrier //


/* local read reset offsets a */


	;; [unrolled: 1-line block ×3, first 2 shown]
/* local read reset offsets b */


	;; [unrolled: 1-line block ×3, first 2 shown]
/* local read init pointers a */


/* localReadInitPointers */


/* local read init pointers b */


/* localReadInitPointers */


/* tail loop: macs */

TailLoopBeginL_6:


/* local read a */

_ds_load_b64 v[vgprValuA_X0_I0+0:vgprValuA_X0_I0+0+1], v[vgprLocalReadAddrA] offset:0 // L -> Reg lro=0 swapByteOffset=0 ti=64 vIdx=0 rIdx=0 oIdx=0 buffer=0 iui=0
_ds_load_b64 v[vgprValuA_X0_I0+2:vgprValuA_X0_I0+2+1], v[vgprLocalReadAddrA] offset:8 // L -> Reg lro=0 swapByteOffset=0 ti=64 vIdx=0 rIdx=0 oIdx=0 buffer=0 iui=0
	;; [unrolled: 1-line block ×4, first 2 shown]


/* local read b */

_ds_load_b64 v[vgprValuB_X0_I0+0:vgprValuB_X0_I0+0+1], v[vgprLocalReadAddrB] offset:0 // L -> Reg lro=0 swapByteOffset=0 ti=16 vIdx=0 rIdx=0 oIdx=0 buffer=0 iui=0


/* local read inc a */

s_mov_b32 s10, 0x1000                              // inc
_v_add_co_u32 v[vgprLocalReadAddrA], vcc, s10, v[vgprLocalReadAddrA] // lrA += 4096 (LSU*(MT+PAD)*bpe)


/* local read inc b */

s_mov_b32 s10, 0x200                               // inc
_v_add_co_u32 v[vgprLocalReadAddrB], vcc, s10, v[vgprLocalReadAddrB] // lrB += 512 (LSU*(MT+PAD)*bpe)

s_waitcnt lgkmcnt(0)                               // lgkmcnt=0 vmcnt=-14wait for local read


	;; [unrolled: 1-line block ×3, first 2 shown]
/* tail loop mfma iter 0: numReadsIterCoalescedA=1, numReadsIterCoalescedB=1 */
v_and_b32 v159, 63, v[vgprSerial]                  // v159 = v[vgprSerial] % 64
v_lshrrev_b32 v159, 4, v159                        // v159 = v159 / 16
                                                   // v159 = v159 * 1 (multiplier is 1, do nothing)
v_cmp_ge_i32 s[38:39], v159, s[sgprLoopCounterL]   // check K index >= Size L
v_cndmask_b32 v[vgprValuA_X0_I0+0+0+0+0], v[vgprValuA_X0_I0+0+0+0+0], 0x0, s[38:39] // set 0 if K_idx >= sizeL
v_cndmask_b32 v[vgprValuA_X0_I0+2+0+0+0], v[vgprValuA_X0_I0+2+0+0+0], 0x0, s[38:39] // set 0 if K_idx >= sizeL
	;; [unrolled: 1-line block ×4, first 2 shown]
v_cndmask_b32 v[vgprValuB_X0_I0+0+0+0+0], v[vgprValuB_X0_I0+0+0+0+0], 0x0, s[38:39] // set 0 if K_idx >= sizeL
v_cndmask_b32 v[vgprValuA_X0_I0+0+0+0+1], v[vgprValuA_X0_I0+0+0+0+1], 0x0, s[38:39] // set 0 if K_idx >= sizeL
v_cndmask_b32 v[vgprValuA_X0_I0+2+0+0+1], v[vgprValuA_X0_I0+2+0+0+1], 0x0, s[38:39] // set 0 if K_idx >= sizeL
	;; [unrolled: 1-line block ×4, first 2 shown]
v_cndmask_b32 v[vgprValuB_X0_I0+0+0+0+1], v[vgprValuB_X0_I0+0+0+0+1], 0x0, s[38:39] // set 0 if K_idx >= sizeL
s_nop 1
v_mfma_f64_16x16x4f64 a[0+0:7+0], v[vgprValuB_X0_I0+0+0+0:vgprValuB_X0_I0+0+0+0+1], v[vgprValuA_X0_I0+0+0+0:vgprValuA_X0_I0+0+0+0+1], a[0:7]
v_mfma_f64_16x16x4f64 a[8+0:15+0], v[vgprValuB_X0_I0+0+0+0:vgprValuB_X0_I0+0+0+0+1], v[vgprValuA_X0_I0+2+0+0:vgprValuA_X0_I0+2+0+0+1], a[8:15]
	;; [unrolled: 1-line block ×4, first 2 shown]


/* closeLoop loopL finalLoop=1 tailLoop=1 */
s_sub_i32 s[sgprLoopCounterL], s[sgprLoopCounterL], 0x4 // dec counterL (tailLoop)
s_add_u32 s[sgprOrigLoopCounter], s[sgprOrigLoopCounter], 0x4 // inc counterL
s_cmp_le_i32 s[sgprLoopCounterL], 0x0              // counterL<=0
s_cbranch_scc0 TailLoopBeginL_6                    // restart LoopL
TailLoopEndL_7:

SkipTailLoopL_8:

Summation_End_20:
s_setprio 0                                        // optimization store
/* endSummation: add vgpr [0...156) to pool */
.set NumFullBlocks, UNDEF
.set WgmRemainder1, UNDEF
.set MagicNumberWgmRemainder1, UNDEF
.set ScalarGlobalReadOffsetA, UNDEF

/* Mapping of Acc register -> C Vgpr register */


	;; [unrolled: 1-line block ×3, first 2 shown]
/* not-LocalSplitU: global write indices */

/* computeStoreVgprs */
v_lshrrev_b32 v4, 6, v[vgprSerial]                 // v4 = v[vgprSerial] / 64
v_and_b32 v1, 63, v[vgprSerial]                    // v1 = v[vgprSerial] % 64
v_lshrrev_b32 v1, 4, v1                            // v1 = v1 / 16
                                                   // thread0 * continuous_output (multiplier is 1, do nothing)
v_lshrrev_b32 v5, 1, v4                            // v5 = v4 / 2
v_mul_lo_u32 v5, 0x10, v5                          // wave coordination offset 1
_v_add_lshl_u32 v1, v5, v1, 0                      // coordination 1 = vwb *(wave_id1 + tid1)
v_mul_lo_u32 v2, v1, s[sgprStrideC1J]              //  offset 1
v_mul_lo_u32 v3, v1, s[sgprStrideD1J]              //  offset 1
v_and_b32 v5, 1, v4                                // v5 = v4 % 2
v_mul_lo_u32 v5, 0x10, v5                          // wave coordination offset 0
v_and_b32 v0, 15, v[vgprSerial]                    // v0 = v[vgprSerial] % 16
_v_add_lshl_u32 v0, v5, v0, 1                      // coordination 0 = vwa *(wave_id0 + tid0)
s_mul_i32 s10, 128, s[sgprWorkGroup0]              // wgp0 * MT0
_v_add_u32 v0, s10, v0                             // coord 0 = (tid0/MI_m)*4 + waveG0*MIB_m + MT0*SG0
s_mul_i32 s10, 16, s[sgprWorkGroup1]               // wgp1 * MT1
_v_add_u32 v1, s10, v1                             // coord 1 = (tid0%MI_m) + waveG1*MIB_n + MT1*SG1


/* not-LocalSplitU: global write */

s_and_b32 s38, 127, s[sgprSizeI]                   // s38 = s[sgprSizeI] % 128
s_add_u32 s39, -0x1, s[sgprNumWorkGroups0]         // 
s_cmp_ge_u32 s[sgprWorkGroup0], s39                // wg0 >= nwg0-1 ?
s_cselect_b32 s38, s38, 0                          // set rMT0
s_cmpk_gt_u32 s38, 0x0                             // rMT0 > 0
s_cbranch_scc1 GW_B0_E1_26                         // jump if edges required
s_and_b32 s38, 15, s[sgprSizeJ]                    // s38 = s[sgprSizeJ] % 16
s_add_u32 s39, -0x1, s[sgprNumWorkGroups1]         // 
s_cmp_ge_u32 s[sgprWorkGroup1], s39                // wg1 >= nwg1-1
s_cselect_b32 s38, s38, 0                          // set rMT1
s_cmpk_gt_u32 s38, 0x0                             // rMT1 > 0
s_cbranch_scc1 GW_B0_E1_26                         // jump if edges required
GW_B0_E0_23:

/* edge=0, allocate 8 sgpr. perBatchTmpS=4 perBatchMaskS=0 perElementMaskS=4 elementsPerBatch=1 */
/* optSingleColVgpr=0 optSharedColVgpr=0 optSGPRUsage=None optSrdIncForRow=0 */
s_sleep 5 // optimization: sync and wait
s_barrier

/******************************************/
/* Global Write Alpha Batch #0 (d1,d0,vc1,vc0) = */
/*    (0,0,0,0:vw2:vaw:1)                 */
/******************************************/

/* calc coords, apply mask, and issue loads (if necessary) */
/* (d1,vc1,d0,vc0)=(0,0,0,0) */
_v_add_lshl_u32 v6, v3, v0, 0x3                    // scaleToBpe: accumulate d0 lower and *= bpe into Cin addr
_buffer_load_b128 v[12:15], v6, s[sgprSrdD:sgprSrdD+3], 0, offen offset:0 // load D (atomic) bpm=16 vaw=1
v_accvgpr_read_b32 v[vgprValuC+16], acc0 // copy acc to vreg[0]
v_accvgpr_read_b32 v[vgprValuC+17], acc1 // copy acc to vreg[1]
v_accvgpr_read_b32 v[vgprValuC+18], acc8 // copy acc to vreg[2]
v_accvgpr_read_b32 v[vgprValuC+19], acc9 // copy acc to vreg[3]
s_nop 1                                            // 2 wait states required before reading vgpr

/* rC *= alpha batchElements=[(0, 0, 0, 0)] */
v_mul_f64 v[vgprValuC+16:vgprValuC+16+1], s[sgprAlpha:sgprAlpha+1], v[vgprValuC+16:vgprValuC+16+1] // *= alpha
v_mul_f64 v[vgprValuC+18:vgprValuC+18+1], s[sgprAlpha:sgprAlpha+1], v[vgprValuC+18:vgprValuC+18+1] // *= alpha
s_waitcnt vmcnt(0)                                 // wait C (atomic)

/* issue first atomic writes */
v_mov_b32 v10, v12                                 // v_mov for reordering loaded data
v_mov_b32 v11, v13                                 // v_mov for reordering loaded data
v_add_f64 v[8:9], v[10:11], v[vgprValuC+16:vgprValuC+16+1] // desired value
_buffer_atomic_cmpswap_b64 v[8:11], v6, s[sgprSrdD:sgprSrdD+3] 0 offen offset:0 glc   // attempt write
v_add_f64 v[12:13], v[14:15], v[vgprValuC+18:vgprValuC+18+1] // desired value
_buffer_atomic_cmpswap_b64 v[12:15], v6, s[sgprSrdD:sgprSrdD+3] 0 offen offset:8 glc   // attempt write
s_waitcnt vmcnt(0)                                 // wait for atomic writes

/* check success of writes, update masks */
v_cmp_ne_u64 s[42:43], v[8:9], v[10:11]            // c read during atomic != c read during prior load
v_cmp_ne_u64 s[44:45], v[12:13], v[14:15]          // c read during atomic != c read during prior load

/* or masks to check for exit */
s_mov_b64 s[38:39], 0x0                            // empty mask
s_or_b64 s[38:39], s[42:43], s[38:39]              // or to add threads
s_or_b64 s[38:39], s[44:45], s[38:39]              // or to add threads
s_or_saveexec_b64 s[40:41], s[38:39]               // apply combined mask
s_cbranch_execz label_0034                         // if exec is zero skip loop

/* atomic CAS loop */
label_0033:

/* apply updated masks and issue writes again */
s_mov_b64 exec, s[42:43]                           // must try again
v_mov_b32 v10, v8                                  // dataV+2 = tmp (new original C)
v_mov_b32 v11, v9                                  // dataV+3 = tmp (new original C)
v_add_f64 v[8:9], v[10:11], v[vgprValuC+16:vgprValuC+16+1] // newC = rC + originalC
_buffer_atomic_cmpswap_b64 v[8:11], v6, s[sgprSrdD:sgprSrdD+3] 0 offen offset:0 glc   // attempt write
s_mov_b64 exec, s[44:45]                           // must try again
v_mov_b32 v14, v12                                 // dataV+2 = tmp (new original C)
v_mov_b32 v15, v13                                 // dataV+3 = tmp (new original C)
v_add_f64 v[12:13], v[14:15], v[vgprValuC+18:vgprValuC+18+1] // newC = rC + originalC
_buffer_atomic_cmpswap_b64 v[12:15], v6, s[sgprSrdD:sgprSrdD+3] 0 offen offset:8 glc   // attempt write
s_waitcnt vmcnt(0)                                 // wait for atomic writes

/* apply masks and check for success */
s_mov_b64 exec, s[42:43]                           // must try again
v_cmp_ne_u64 s[38:39], v[8:9], v[10:11]            // c read during atomic != c read during prior load
s_and_b64 s[42:43], s[38:39], s[42:43]             // inBounds & must try again
s_mov_b64 exec, s[44:45]                           // must try again
v_cmp_ne_u64 s[38:39], v[12:13], v[14:15]          // c read during atomic != c read during prior load
s_and_b64 s[44:45], s[38:39], s[44:45]             // inBounds & must try again

/* or masks to check for exit */
s_mov_b64 s[38:39], 0x0                            // empty mask
s_or_b64 s[38:39], s[42:43], s[38:39]              // or to add threads
s_or_b64 s[38:39], s[44:45], s[38:39]              // or to add threads
s_or_saveexec_b64 s[40:41], s[38:39]               // apply combined mask
s_cbranch_execnz label_0033                        // try again if not complete
label_0034:
s_mov_b64 exec, -1                                 // full mask -> exec
s_nop 0                                            // 1 wait state required when next inst writes vgprs held by previous dwordx4 store inst
/* optSingleColVgpr=0 optSharedColVgpr=0 optSGPRUsage=None optSrdIncForRow=0 */
s_sleep 5 // optimization: sync and wait
s_barrier

/******************************************/
/* Global Write Alpha Batch #1 (d1,d0,vc1,vc0) = */
/*    (0,1,0,0:vw2:vaw:1)                 */
/******************************************/

/* calc coords, apply mask, and issue loads (if necessary) */
/* (d1,vc1,d0,vc0)=(0,0,1,0) */
_v_add_co_u32 v4, vcc, v0, 64                      // coord0.1: coord0 += d0*sg0*VW + vc0
_v_add_lshl_u32 v6, v3, v4, 0x3                    // scaleToBpe: accumulate d0 lower and *= bpe into Cin addr
_buffer_load_b128 v[12:15], v6, s[sgprSrdD:sgprSrdD+3], 0, offen offset:0 // load D (atomic) bpm=16 vaw=1
v_accvgpr_read_b32 v[vgprValuC+16], acc16 // copy acc to vreg[4]
v_accvgpr_read_b32 v[vgprValuC+17], acc17 // copy acc to vreg[5]
v_accvgpr_read_b32 v[vgprValuC+18], acc24 // copy acc to vreg[6]
v_accvgpr_read_b32 v[vgprValuC+19], acc25 // copy acc to vreg[7]
s_nop 1                                            // 2 wait states required before reading vgpr

/* rC *= alpha batchElements=[(0, 1, 0, 0)] */
v_mul_f64 v[vgprValuC+16:vgprValuC+16+1], s[sgprAlpha:sgprAlpha+1], v[vgprValuC+16:vgprValuC+16+1] // *= alpha
v_mul_f64 v[vgprValuC+18:vgprValuC+18+1], s[sgprAlpha:sgprAlpha+1], v[vgprValuC+18:vgprValuC+18+1] // *= alpha
s_waitcnt vmcnt(0)                                 // wait C (atomic)

/* issue first atomic writes */
v_mov_b32 v10, v12                                 // v_mov for reordering loaded data
v_mov_b32 v11, v13                                 // v_mov for reordering loaded data
v_add_f64 v[8:9], v[10:11], v[vgprValuC+16:vgprValuC+16+1] // desired value
_buffer_atomic_cmpswap_b64 v[8:11], v6, s[sgprSrdD:sgprSrdD+3] 0 offen offset:0 glc   // attempt write
v_add_f64 v[12:13], v[14:15], v[vgprValuC+18:vgprValuC+18+1] // desired value
_buffer_atomic_cmpswap_b64 v[12:15], v6, s[sgprSrdD:sgprSrdD+3] 0 offen offset:8 glc   // attempt write
s_waitcnt vmcnt(0)                                 // wait for atomic writes

/* check success of writes, update masks */
v_cmp_ne_u64 s[42:43], v[8:9], v[10:11]            // c read during atomic != c read during prior load
v_cmp_ne_u64 s[44:45], v[12:13], v[14:15]          // c read during atomic != c read during prior load

/* or masks to check for exit */
s_mov_b64 s[38:39], 0x0                            // empty mask
s_or_b64 s[38:39], s[42:43], s[38:39]              // or to add threads
s_or_b64 s[38:39], s[44:45], s[38:39]              // or to add threads
s_or_saveexec_b64 s[40:41], s[38:39]               // apply combined mask
s_cbranch_execz label_0036                         // if exec is zero skip loop

/* atomic CAS loop */
label_0035:

/* apply updated masks and issue writes again */
s_mov_b64 exec, s[42:43]                           // must try again
v_mov_b32 v10, v8                                  // dataV+2 = tmp (new original C)
v_mov_b32 v11, v9                                  // dataV+3 = tmp (new original C)
v_add_f64 v[8:9], v[10:11], v[vgprValuC+16:vgprValuC+16+1] // newC = rC + originalC
_buffer_atomic_cmpswap_b64 v[8:11], v6, s[sgprSrdD:sgprSrdD+3] 0 offen offset:0 glc   // attempt write
s_mov_b64 exec, s[44:45]                           // must try again
v_mov_b32 v14, v12                                 // dataV+2 = tmp (new original C)
v_mov_b32 v15, v13                                 // dataV+3 = tmp (new original C)
v_add_f64 v[12:13], v[14:15], v[vgprValuC+18:vgprValuC+18+1] // newC = rC + originalC
_buffer_atomic_cmpswap_b64 v[12:15], v6, s[sgprSrdD:sgprSrdD+3] 0 offen offset:8 glc   // attempt write
s_waitcnt vmcnt(0)                                 // wait for atomic writes

/* apply masks and check for success */
s_mov_b64 exec, s[42:43]                           // must try again
v_cmp_ne_u64 s[38:39], v[8:9], v[10:11]            // c read during atomic != c read during prior load
s_and_b64 s[42:43], s[38:39], s[42:43]             // inBounds & must try again
s_mov_b64 exec, s[44:45]                           // must try again
v_cmp_ne_u64 s[38:39], v[12:13], v[14:15]          // c read during atomic != c read during prior load
s_and_b64 s[44:45], s[38:39], s[44:45]             // inBounds & must try again

/* or masks to check for exit */
s_mov_b64 s[38:39], 0x0                            // empty mask
s_or_b64 s[38:39], s[42:43], s[38:39]              // or to add threads
s_or_b64 s[38:39], s[44:45], s[38:39]              // or to add threads
s_or_saveexec_b64 s[40:41], s[38:39]               // apply combined mask
s_cbranch_execnz label_0035                        // try again if not complete
label_0036:
s_mov_b64 exec, -1                                 // full mask -> exec
s_nop 0                                            // 1 wait state required when next inst writes vgprs held by previous dwordx4 store inst
/* optSingleColVgpr=0 optSharedColVgpr=0 optSGPRUsage=None optSrdIncForRow=0 */
s_sleep 5 // optimization: sync and wait
s_barrier

/******************************************/
/* Global Write Alpha Batch #2 (d1,d0,vc1,vc0) = */
/*    (1,0,0,0:vw2:vaw:1)                 */
/******************************************/

/* calc coords, apply mask, and issue loads (if necessary) */
/* (d1,vc1,d0,vc0)=(1,0,0,0) */

/* Fix for UseInitialStridesCD, emitAddressSetupCode */
s_mul_i32 s38, s[sgprStrideC1J], 4                 // scale stride
_v_add_u32 v2, v2, s38                             // ROWINC- Move cinRowPtr to next row
s_mul_i32 s38, s[sgprStrideD1J], 4                 // scale stride
_v_add_u32 v3, v3, s38                             // Move coutRowPtr to next row
_v_add_lshl_u32 v6, v3, v0, 0x3                    // scaleToBpe: accumulate d0 lower and *= bpe into Cin addr
_buffer_load_b128 v[12:15], v6, s[sgprSrdD:sgprSrdD+3], 0, offen offset:0 // load D (atomic) bpm=16 vaw=1
v_accvgpr_read_b32 v[vgprValuC+16], acc2 // copy acc to vreg[8]
v_accvgpr_read_b32 v[vgprValuC+17], acc3 // copy acc to vreg[9]
v_accvgpr_read_b32 v[vgprValuC+18], acc10 // copy acc to vreg[10]
v_accvgpr_read_b32 v[vgprValuC+19], acc11 // copy acc to vreg[11]
s_nop 1                                            // 2 wait states required before reading vgpr

/* rC *= alpha batchElements=[(1, 0, 0, 0)] */
v_mul_f64 v[vgprValuC+16:vgprValuC+16+1], s[sgprAlpha:sgprAlpha+1], v[vgprValuC+16:vgprValuC+16+1] // *= alpha
v_mul_f64 v[vgprValuC+18:vgprValuC+18+1], s[sgprAlpha:sgprAlpha+1], v[vgprValuC+18:vgprValuC+18+1] // *= alpha
s_waitcnt vmcnt(0)                                 // wait C (atomic)

/* issue first atomic writes */
v_mov_b32 v10, v12                                 // v_mov for reordering loaded data
v_mov_b32 v11, v13                                 // v_mov for reordering loaded data
v_add_f64 v[8:9], v[10:11], v[vgprValuC+16:vgprValuC+16+1] // desired value
_buffer_atomic_cmpswap_b64 v[8:11], v6, s[sgprSrdD:sgprSrdD+3] 0 offen offset:0 glc   // attempt write
v_add_f64 v[12:13], v[14:15], v[vgprValuC+18:vgprValuC+18+1] // desired value
_buffer_atomic_cmpswap_b64 v[12:15], v6, s[sgprSrdD:sgprSrdD+3] 0 offen offset:8 glc   // attempt write
s_waitcnt vmcnt(0)                                 // wait for atomic writes

/* check success of writes, update masks */
v_cmp_ne_u64 s[42:43], v[8:9], v[10:11]            // c read during atomic != c read during prior load
v_cmp_ne_u64 s[44:45], v[12:13], v[14:15]          // c read during atomic != c read during prior load

/* or masks to check for exit */
s_mov_b64 s[38:39], 0x0                            // empty mask
s_or_b64 s[38:39], s[42:43], s[38:39]              // or to add threads
s_or_b64 s[38:39], s[44:45], s[38:39]              // or to add threads
s_or_saveexec_b64 s[40:41], s[38:39]               // apply combined mask
s_cbranch_execz label_0038                         // if exec is zero skip loop

/* atomic CAS loop */
label_0037:

/* apply updated masks and issue writes again */
s_mov_b64 exec, s[42:43]                           // must try again
v_mov_b32 v10, v8                                  // dataV+2 = tmp (new original C)
v_mov_b32 v11, v9                                  // dataV+3 = tmp (new original C)
v_add_f64 v[8:9], v[10:11], v[vgprValuC+16:vgprValuC+16+1] // newC = rC + originalC
_buffer_atomic_cmpswap_b64 v[8:11], v6, s[sgprSrdD:sgprSrdD+3] 0 offen offset:0 glc   // attempt write
s_mov_b64 exec, s[44:45]                           // must try again
v_mov_b32 v14, v12                                 // dataV+2 = tmp (new original C)
v_mov_b32 v15, v13                                 // dataV+3 = tmp (new original C)
v_add_f64 v[12:13], v[14:15], v[vgprValuC+18:vgprValuC+18+1] // newC = rC + originalC
_buffer_atomic_cmpswap_b64 v[12:15], v6, s[sgprSrdD:sgprSrdD+3] 0 offen offset:8 glc   // attempt write
s_waitcnt vmcnt(0)                                 // wait for atomic writes

/* apply masks and check for success */
s_mov_b64 exec, s[42:43]                           // must try again
v_cmp_ne_u64 s[38:39], v[8:9], v[10:11]            // c read during atomic != c read during prior load
s_and_b64 s[42:43], s[38:39], s[42:43]             // inBounds & must try again
s_mov_b64 exec, s[44:45]                           // must try again
v_cmp_ne_u64 s[38:39], v[12:13], v[14:15]          // c read during atomic != c read during prior load
s_and_b64 s[44:45], s[38:39], s[44:45]             // inBounds & must try again

/* or masks to check for exit */
s_mov_b64 s[38:39], 0x0                            // empty mask
s_or_b64 s[38:39], s[42:43], s[38:39]              // or to add threads
s_or_b64 s[38:39], s[44:45], s[38:39]              // or to add threads
s_or_saveexec_b64 s[40:41], s[38:39]               // apply combined mask
s_cbranch_execnz label_0037                        // try again if not complete
label_0038:
s_mov_b64 exec, -1                                 // full mask -> exec
s_nop 0                                            // 1 wait state required when next inst writes vgprs held by previous dwordx4 store inst
/* optSingleColVgpr=0 optSharedColVgpr=0 optSGPRUsage=None optSrdIncForRow=0 */
s_sleep 5 // optimization: sync and wait
s_barrier

/******************************************/
/* Global Write Alpha Batch #3 (d1,d0,vc1,vc0) = */
/*    (1,1,0,0:vw2:vaw:1)                 */
/******************************************/

/* calc coords, apply mask, and issue loads (if necessary) */
/* (d1,vc1,d0,vc0)=(1,0,1,0) */
_v_add_co_u32 v4, vcc, v0, 64                      // coord0.1: coord0 += d0*sg0*VW + vc0
_v_add_lshl_u32 v6, v3, v4, 0x3                    // scaleToBpe: accumulate d0 lower and *= bpe into Cin addr
_buffer_load_b128 v[12:15], v6, s[sgprSrdD:sgprSrdD+3], 0, offen offset:0 // load D (atomic) bpm=16 vaw=1
v_accvgpr_read_b32 v[vgprValuC+16], acc18 // copy acc to vreg[12]
v_accvgpr_read_b32 v[vgprValuC+17], acc19 // copy acc to vreg[13]
v_accvgpr_read_b32 v[vgprValuC+18], acc26 // copy acc to vreg[14]
v_accvgpr_read_b32 v[vgprValuC+19], acc27 // copy acc to vreg[15]
s_nop 1                                            // 2 wait states required before reading vgpr

/* rC *= alpha batchElements=[(1, 1, 0, 0)] */
v_mul_f64 v[vgprValuC+16:vgprValuC+16+1], s[sgprAlpha:sgprAlpha+1], v[vgprValuC+16:vgprValuC+16+1] // *= alpha
v_mul_f64 v[vgprValuC+18:vgprValuC+18+1], s[sgprAlpha:sgprAlpha+1], v[vgprValuC+18:vgprValuC+18+1] // *= alpha
s_waitcnt vmcnt(0)                                 // wait C (atomic)

/* issue first atomic writes */
v_mov_b32 v10, v12                                 // v_mov for reordering loaded data
v_mov_b32 v11, v13                                 // v_mov for reordering loaded data
v_add_f64 v[8:9], v[10:11], v[vgprValuC+16:vgprValuC+16+1] // desired value
_buffer_atomic_cmpswap_b64 v[8:11], v6, s[sgprSrdD:sgprSrdD+3] 0 offen offset:0 glc   // attempt write
v_add_f64 v[12:13], v[14:15], v[vgprValuC+18:vgprValuC+18+1] // desired value
_buffer_atomic_cmpswap_b64 v[12:15], v6, s[sgprSrdD:sgprSrdD+3] 0 offen offset:8 glc   // attempt write
s_waitcnt vmcnt(0)                                 // wait for atomic writes

/* check success of writes, update masks */
v_cmp_ne_u64 s[42:43], v[8:9], v[10:11]            // c read during atomic != c read during prior load
v_cmp_ne_u64 s[44:45], v[12:13], v[14:15]          // c read during atomic != c read during prior load

/* or masks to check for exit */
s_mov_b64 s[38:39], 0x0                            // empty mask
s_or_b64 s[38:39], s[42:43], s[38:39]              // or to add threads
s_or_b64 s[38:39], s[44:45], s[38:39]              // or to add threads
s_or_saveexec_b64 s[40:41], s[38:39]               // apply combined mask
s_cbranch_execz label_0040                         // if exec is zero skip loop

/* atomic CAS loop */
label_0039:

/* apply updated masks and issue writes again */
s_mov_b64 exec, s[42:43]                           // must try again
v_mov_b32 v10, v8                                  // dataV+2 = tmp (new original C)
v_mov_b32 v11, v9                                  // dataV+3 = tmp (new original C)
v_add_f64 v[8:9], v[10:11], v[vgprValuC+16:vgprValuC+16+1] // newC = rC + originalC
_buffer_atomic_cmpswap_b64 v[8:11], v6, s[sgprSrdD:sgprSrdD+3] 0 offen offset:0 glc   // attempt write
s_mov_b64 exec, s[44:45]                           // must try again
v_mov_b32 v14, v12                                 // dataV+2 = tmp (new original C)
v_mov_b32 v15, v13                                 // dataV+3 = tmp (new original C)
v_add_f64 v[12:13], v[14:15], v[vgprValuC+18:vgprValuC+18+1] // newC = rC + originalC
_buffer_atomic_cmpswap_b64 v[12:15], v6, s[sgprSrdD:sgprSrdD+3] 0 offen offset:8 glc   // attempt write
s_waitcnt vmcnt(0)                                 // wait for atomic writes

/* apply masks and check for success */
s_mov_b64 exec, s[42:43]                           // must try again
v_cmp_ne_u64 s[38:39], v[8:9], v[10:11]            // c read during atomic != c read during prior load
s_and_b64 s[42:43], s[38:39], s[42:43]             // inBounds & must try again
s_mov_b64 exec, s[44:45]                           // must try again
v_cmp_ne_u64 s[38:39], v[12:13], v[14:15]          // c read during atomic != c read during prior load
s_and_b64 s[44:45], s[38:39], s[44:45]             // inBounds & must try again

/* or masks to check for exit */
s_mov_b64 s[38:39], 0x0                            // empty mask
s_or_b64 s[38:39], s[42:43], s[38:39]              // or to add threads
s_or_b64 s[38:39], s[44:45], s[38:39]              // or to add threads
s_or_saveexec_b64 s[40:41], s[38:39]               // apply combined mask
s_cbranch_execnz label_0039                        // try again if not complete
label_0040:
s_mov_b64 exec, -1                                 // full mask -> exec
s_nop 0                                            // 1 wait state required when next inst writes vgprs held by previous dwordx4 store inst
/* optSingleColVgpr=0 optSharedColVgpr=0 optSGPRUsage=None optSrdIncForRow=0 */
s_sleep 5 // optimization: sync and wait
s_barrier

/******************************************/
/* Global Write Alpha Batch #4 (d1,d0,vc1,vc0) = */
/*    (2,0,0,0:vw2:vaw:1)                 */
/******************************************/

/* calc coords, apply mask, and issue loads (if necessary) */
/* (d1,vc1,d0,vc0)=(2,0,0,0) */

/* Fix for UseInitialStridesCD, emitAddressSetupCode */
s_mul_i32 s38, s[sgprStrideC1J], 4                 // scale stride
_v_add_u32 v2, v2, s38                             // ROWINC- Move cinRowPtr to next row
s_mul_i32 s38, s[sgprStrideD1J], 4                 // scale stride
_v_add_u32 v3, v3, s38                             // Move coutRowPtr to next row
_v_add_lshl_u32 v6, v3, v0, 0x3                    // scaleToBpe: accumulate d0 lower and *= bpe into Cin addr
_buffer_load_b128 v[12:15], v6, s[sgprSrdD:sgprSrdD+3], 0, offen offset:0 // load D (atomic) bpm=16 vaw=1
v_accvgpr_read_b32 v[vgprValuC+16], acc4 // copy acc to vreg[16]
v_accvgpr_read_b32 v[vgprValuC+17], acc5 // copy acc to vreg[17]
v_accvgpr_read_b32 v[vgprValuC+18], acc12 // copy acc to vreg[18]
v_accvgpr_read_b32 v[vgprValuC+19], acc13 // copy acc to vreg[19]
s_nop 1                                            // 2 wait states required before reading vgpr

/* rC *= alpha batchElements=[(2, 0, 0, 0)] */
v_mul_f64 v[vgprValuC+16:vgprValuC+16+1], s[sgprAlpha:sgprAlpha+1], v[vgprValuC+16:vgprValuC+16+1] // *= alpha
v_mul_f64 v[vgprValuC+18:vgprValuC+18+1], s[sgprAlpha:sgprAlpha+1], v[vgprValuC+18:vgprValuC+18+1] // *= alpha
s_waitcnt vmcnt(0)                                 // wait C (atomic)

/* issue first atomic writes */
v_mov_b32 v10, v12                                 // v_mov for reordering loaded data
v_mov_b32 v11, v13                                 // v_mov for reordering loaded data
v_add_f64 v[8:9], v[10:11], v[vgprValuC+16:vgprValuC+16+1] // desired value
_buffer_atomic_cmpswap_b64 v[8:11], v6, s[sgprSrdD:sgprSrdD+3] 0 offen offset:0 glc   // attempt write
v_add_f64 v[12:13], v[14:15], v[vgprValuC+18:vgprValuC+18+1] // desired value
_buffer_atomic_cmpswap_b64 v[12:15], v6, s[sgprSrdD:sgprSrdD+3] 0 offen offset:8 glc   // attempt write
s_waitcnt vmcnt(0)                                 // wait for atomic writes

/* check success of writes, update masks */
v_cmp_ne_u64 s[42:43], v[8:9], v[10:11]            // c read during atomic != c read during prior load
v_cmp_ne_u64 s[44:45], v[12:13], v[14:15]          // c read during atomic != c read during prior load

/* or masks to check for exit */
s_mov_b64 s[38:39], 0x0                            // empty mask
s_or_b64 s[38:39], s[42:43], s[38:39]              // or to add threads
s_or_b64 s[38:39], s[44:45], s[38:39]              // or to add threads
s_or_saveexec_b64 s[40:41], s[38:39]               // apply combined mask
s_cbranch_execz label_0042                         // if exec is zero skip loop

/* atomic CAS loop */
label_0041:

/* apply updated masks and issue writes again */
s_mov_b64 exec, s[42:43]                           // must try again
v_mov_b32 v10, v8                                  // dataV+2 = tmp (new original C)
v_mov_b32 v11, v9                                  // dataV+3 = tmp (new original C)
v_add_f64 v[8:9], v[10:11], v[vgprValuC+16:vgprValuC+16+1] // newC = rC + originalC
_buffer_atomic_cmpswap_b64 v[8:11], v6, s[sgprSrdD:sgprSrdD+3] 0 offen offset:0 glc   // attempt write
s_mov_b64 exec, s[44:45]                           // must try again
v_mov_b32 v14, v12                                 // dataV+2 = tmp (new original C)
v_mov_b32 v15, v13                                 // dataV+3 = tmp (new original C)
v_add_f64 v[12:13], v[14:15], v[vgprValuC+18:vgprValuC+18+1] // newC = rC + originalC
_buffer_atomic_cmpswap_b64 v[12:15], v6, s[sgprSrdD:sgprSrdD+3] 0 offen offset:8 glc   // attempt write
s_waitcnt vmcnt(0)                                 // wait for atomic writes

/* apply masks and check for success */
s_mov_b64 exec, s[42:43]                           // must try again
v_cmp_ne_u64 s[38:39], v[8:9], v[10:11]            // c read during atomic != c read during prior load
s_and_b64 s[42:43], s[38:39], s[42:43]             // inBounds & must try again
s_mov_b64 exec, s[44:45]                           // must try again
v_cmp_ne_u64 s[38:39], v[12:13], v[14:15]          // c read during atomic != c read during prior load
s_and_b64 s[44:45], s[38:39], s[44:45]             // inBounds & must try again

/* or masks to check for exit */
s_mov_b64 s[38:39], 0x0                            // empty mask
s_or_b64 s[38:39], s[42:43], s[38:39]              // or to add threads
s_or_b64 s[38:39], s[44:45], s[38:39]              // or to add threads
s_or_saveexec_b64 s[40:41], s[38:39]               // apply combined mask
s_cbranch_execnz label_0041                        // try again if not complete
label_0042:
s_mov_b64 exec, -1                                 // full mask -> exec
s_nop 0                                            // 1 wait state required when next inst writes vgprs held by previous dwordx4 store inst
/* optSingleColVgpr=0 optSharedColVgpr=0 optSGPRUsage=None optSrdIncForRow=0 */
s_sleep 5 // optimization: sync and wait
s_barrier

/******************************************/
/* Global Write Alpha Batch #5 (d1,d0,vc1,vc0) = */
/*    (2,1,0,0:vw2:vaw:1)                 */
/******************************************/

/* calc coords, apply mask, and issue loads (if necessary) */
/* (d1,vc1,d0,vc0)=(2,0,1,0) */
_v_add_co_u32 v4, vcc, v0, 64                      // coord0.1: coord0 += d0*sg0*VW + vc0
_v_add_lshl_u32 v6, v3, v4, 0x3                    // scaleToBpe: accumulate d0 lower and *= bpe into Cin addr
_buffer_load_b128 v[12:15], v6, s[sgprSrdD:sgprSrdD+3], 0, offen offset:0 // load D (atomic) bpm=16 vaw=1
v_accvgpr_read_b32 v[vgprValuC+16], acc20 // copy acc to vreg[20]
v_accvgpr_read_b32 v[vgprValuC+17], acc21 // copy acc to vreg[21]
v_accvgpr_read_b32 v[vgprValuC+18], acc28 // copy acc to vreg[22]
v_accvgpr_read_b32 v[vgprValuC+19], acc29 // copy acc to vreg[23]
s_nop 1                                            // 2 wait states required before reading vgpr

/* rC *= alpha batchElements=[(2, 1, 0, 0)] */
v_mul_f64 v[vgprValuC+16:vgprValuC+16+1], s[sgprAlpha:sgprAlpha+1], v[vgprValuC+16:vgprValuC+16+1] // *= alpha
v_mul_f64 v[vgprValuC+18:vgprValuC+18+1], s[sgprAlpha:sgprAlpha+1], v[vgprValuC+18:vgprValuC+18+1] // *= alpha
s_waitcnt vmcnt(0)                                 // wait C (atomic)

/* issue first atomic writes */
v_mov_b32 v10, v12                                 // v_mov for reordering loaded data
v_mov_b32 v11, v13                                 // v_mov for reordering loaded data
v_add_f64 v[8:9], v[10:11], v[vgprValuC+16:vgprValuC+16+1] // desired value
_buffer_atomic_cmpswap_b64 v[8:11], v6, s[sgprSrdD:sgprSrdD+3] 0 offen offset:0 glc   // attempt write
v_add_f64 v[12:13], v[14:15], v[vgprValuC+18:vgprValuC+18+1] // desired value
_buffer_atomic_cmpswap_b64 v[12:15], v6, s[sgprSrdD:sgprSrdD+3] 0 offen offset:8 glc   // attempt write
s_waitcnt vmcnt(0)                                 // wait for atomic writes

/* check success of writes, update masks */
v_cmp_ne_u64 s[42:43], v[8:9], v[10:11]            // c read during atomic != c read during prior load
v_cmp_ne_u64 s[44:45], v[12:13], v[14:15]          // c read during atomic != c read during prior load

/* or masks to check for exit */
s_mov_b64 s[38:39], 0x0                            // empty mask
s_or_b64 s[38:39], s[42:43], s[38:39]              // or to add threads
s_or_b64 s[38:39], s[44:45], s[38:39]              // or to add threads
s_or_saveexec_b64 s[40:41], s[38:39]               // apply combined mask
s_cbranch_execz label_0044                         // if exec is zero skip loop

/* atomic CAS loop */
label_0043:

/* apply updated masks and issue writes again */
s_mov_b64 exec, s[42:43]                           // must try again
v_mov_b32 v10, v8                                  // dataV+2 = tmp (new original C)
v_mov_b32 v11, v9                                  // dataV+3 = tmp (new original C)
v_add_f64 v[8:9], v[10:11], v[vgprValuC+16:vgprValuC+16+1] // newC = rC + originalC
_buffer_atomic_cmpswap_b64 v[8:11], v6, s[sgprSrdD:sgprSrdD+3] 0 offen offset:0 glc   // attempt write
s_mov_b64 exec, s[44:45]                           // must try again
v_mov_b32 v14, v12                                 // dataV+2 = tmp (new original C)
v_mov_b32 v15, v13                                 // dataV+3 = tmp (new original C)
v_add_f64 v[12:13], v[14:15], v[vgprValuC+18:vgprValuC+18+1] // newC = rC + originalC
_buffer_atomic_cmpswap_b64 v[12:15], v6, s[sgprSrdD:sgprSrdD+3] 0 offen offset:8 glc   // attempt write
s_waitcnt vmcnt(0)                                 // wait for atomic writes

/* apply masks and check for success */
s_mov_b64 exec, s[42:43]                           // must try again
v_cmp_ne_u64 s[38:39], v[8:9], v[10:11]            // c read during atomic != c read during prior load
s_and_b64 s[42:43], s[38:39], s[42:43]             // inBounds & must try again
s_mov_b64 exec, s[44:45]                           // must try again
v_cmp_ne_u64 s[38:39], v[12:13], v[14:15]          // c read during atomic != c read during prior load
s_and_b64 s[44:45], s[38:39], s[44:45]             // inBounds & must try again

/* or masks to check for exit */
s_mov_b64 s[38:39], 0x0                            // empty mask
s_or_b64 s[38:39], s[42:43], s[38:39]              // or to add threads
s_or_b64 s[38:39], s[44:45], s[38:39]              // or to add threads
s_or_saveexec_b64 s[40:41], s[38:39]               // apply combined mask
s_cbranch_execnz label_0043                        // try again if not complete
label_0044:
s_mov_b64 exec, -1                                 // full mask -> exec
s_nop 0                                            // 1 wait state required when next inst writes vgprs held by previous dwordx4 store inst
/* optSingleColVgpr=0 optSharedColVgpr=0 optSGPRUsage=None optSrdIncForRow=0 */
s_sleep 5 // optimization: sync and wait
s_barrier

/******************************************/
/* Global Write Alpha Batch #6 (d1,d0,vc1,vc0) = */
/*    (3,0,0,0:vw2:vaw:1)                 */
/******************************************/

/* calc coords, apply mask, and issue loads (if necessary) */
/* (d1,vc1,d0,vc0)=(3,0,0,0) */

/* Fix for UseInitialStridesCD, emitAddressSetupCode */
s_mul_i32 s38, s[sgprStrideC1J], 4                 // scale stride
_v_add_u32 v2, v2, s38                             // ROWINC- Move cinRowPtr to next row
s_mul_i32 s38, s[sgprStrideD1J], 4                 // scale stride
_v_add_u32 v3, v3, s38                             // Move coutRowPtr to next row
_v_add_lshl_u32 v6, v3, v0, 0x3                    // scaleToBpe: accumulate d0 lower and *= bpe into Cin addr
_buffer_load_b128 v[12:15], v6, s[sgprSrdD:sgprSrdD+3], 0, offen offset:0 // load D (atomic) bpm=16 vaw=1
v_accvgpr_read_b32 v[vgprValuC+16], acc6 // copy acc to vreg[24]
v_accvgpr_read_b32 v[vgprValuC+17], acc7 // copy acc to vreg[25]
v_accvgpr_read_b32 v[vgprValuC+18], acc14 // copy acc to vreg[26]
v_accvgpr_read_b32 v[vgprValuC+19], acc15 // copy acc to vreg[27]
s_nop 1                                            // 2 wait states required before reading vgpr

/* rC *= alpha batchElements=[(3, 0, 0, 0)] */
v_mul_f64 v[vgprValuC+16:vgprValuC+16+1], s[sgprAlpha:sgprAlpha+1], v[vgprValuC+16:vgprValuC+16+1] // *= alpha
v_mul_f64 v[vgprValuC+18:vgprValuC+18+1], s[sgprAlpha:sgprAlpha+1], v[vgprValuC+18:vgprValuC+18+1] // *= alpha
s_waitcnt vmcnt(0)                                 // wait C (atomic)

/* issue first atomic writes */
v_mov_b32 v10, v12                                 // v_mov for reordering loaded data
v_mov_b32 v11, v13                                 // v_mov for reordering loaded data
v_add_f64 v[8:9], v[10:11], v[vgprValuC+16:vgprValuC+16+1] // desired value
_buffer_atomic_cmpswap_b64 v[8:11], v6, s[sgprSrdD:sgprSrdD+3] 0 offen offset:0 glc   // attempt write
v_add_f64 v[12:13], v[14:15], v[vgprValuC+18:vgprValuC+18+1] // desired value
_buffer_atomic_cmpswap_b64 v[12:15], v6, s[sgprSrdD:sgprSrdD+3] 0 offen offset:8 glc   // attempt write
s_waitcnt vmcnt(0)                                 // wait for atomic writes

/* check success of writes, update masks */
v_cmp_ne_u64 s[42:43], v[8:9], v[10:11]            // c read during atomic != c read during prior load
v_cmp_ne_u64 s[44:45], v[12:13], v[14:15]          // c read during atomic != c read during prior load

/* or masks to check for exit */
s_mov_b64 s[38:39], 0x0                            // empty mask
s_or_b64 s[38:39], s[42:43], s[38:39]              // or to add threads
s_or_b64 s[38:39], s[44:45], s[38:39]              // or to add threads
s_or_saveexec_b64 s[40:41], s[38:39]               // apply combined mask
s_cbranch_execz label_0046                         // if exec is zero skip loop

/* atomic CAS loop */
label_0045:

/* apply updated masks and issue writes again */
s_mov_b64 exec, s[42:43]                           // must try again
v_mov_b32 v10, v8                                  // dataV+2 = tmp (new original C)
v_mov_b32 v11, v9                                  // dataV+3 = tmp (new original C)
v_add_f64 v[8:9], v[10:11], v[vgprValuC+16:vgprValuC+16+1] // newC = rC + originalC
_buffer_atomic_cmpswap_b64 v[8:11], v6, s[sgprSrdD:sgprSrdD+3] 0 offen offset:0 glc   // attempt write
s_mov_b64 exec, s[44:45]                           // must try again
v_mov_b32 v14, v12                                 // dataV+2 = tmp (new original C)
v_mov_b32 v15, v13                                 // dataV+3 = tmp (new original C)
v_add_f64 v[12:13], v[14:15], v[vgprValuC+18:vgprValuC+18+1] // newC = rC + originalC
_buffer_atomic_cmpswap_b64 v[12:15], v6, s[sgprSrdD:sgprSrdD+3] 0 offen offset:8 glc   // attempt write
s_waitcnt vmcnt(0)                                 // wait for atomic writes

/* apply masks and check for success */
s_mov_b64 exec, s[42:43]                           // must try again
v_cmp_ne_u64 s[38:39], v[8:9], v[10:11]            // c read during atomic != c read during prior load
s_and_b64 s[42:43], s[38:39], s[42:43]             // inBounds & must try again
s_mov_b64 exec, s[44:45]                           // must try again
v_cmp_ne_u64 s[38:39], v[12:13], v[14:15]          // c read during atomic != c read during prior load
s_and_b64 s[44:45], s[38:39], s[44:45]             // inBounds & must try again

/* or masks to check for exit */
s_mov_b64 s[38:39], 0x0                            // empty mask
s_or_b64 s[38:39], s[42:43], s[38:39]              // or to add threads
s_or_b64 s[38:39], s[44:45], s[38:39]              // or to add threads
s_or_saveexec_b64 s[40:41], s[38:39]               // apply combined mask
s_cbranch_execnz label_0045                        // try again if not complete
label_0046:
s_mov_b64 exec, -1                                 // full mask -> exec
s_nop 0                                            // 1 wait state required when next inst writes vgprs held by previous dwordx4 store inst
/* optSingleColVgpr=0 optSharedColVgpr=0 optSGPRUsage=None optSrdIncForRow=0 */
s_sleep 5 // optimization: sync and wait
s_barrier

/******************************************/
/* Global Write Alpha Batch #7 (d1,d0,vc1,vc0) = */
/*    (3,1,0,0:vw2:vaw:1)                 */
/******************************************/

/* calc coords, apply mask, and issue loads (if necessary) */
/* (d1,vc1,d0,vc0)=(3,0,1,0) */
_v_add_co_u32 v4, vcc, v0, 64                      // coord0.1: coord0 += d0*sg0*VW + vc0
_v_add_lshl_u32 v6, v3, v4, 0x3                    // scaleToBpe: accumulate d0 lower and *= bpe into Cin addr
_buffer_load_b128 v[12:15], v6, s[sgprSrdD:sgprSrdD+3], 0, offen offset:0 // load D (atomic) bpm=16 vaw=1
v_accvgpr_read_b32 v[vgprValuC+16], acc22 // copy acc to vreg[28]
v_accvgpr_read_b32 v[vgprValuC+17], acc23 // copy acc to vreg[29]
v_accvgpr_read_b32 v[vgprValuC+18], acc30 // copy acc to vreg[30]
v_accvgpr_read_b32 v[vgprValuC+19], acc31 // copy acc to vreg[31]
s_nop 1                                            // 2 wait states required before reading vgpr

/* rC *= alpha batchElements=[(3, 1, 0, 0)] */
v_mul_f64 v[vgprValuC+16:vgprValuC+16+1], s[sgprAlpha:sgprAlpha+1], v[vgprValuC+16:vgprValuC+16+1] // *= alpha
v_mul_f64 v[vgprValuC+18:vgprValuC+18+1], s[sgprAlpha:sgprAlpha+1], v[vgprValuC+18:vgprValuC+18+1] // *= alpha
s_waitcnt vmcnt(0)                                 // wait C (atomic)

/* issue first atomic writes */
v_mov_b32 v10, v12                                 // v_mov for reordering loaded data
v_mov_b32 v11, v13                                 // v_mov for reordering loaded data
v_add_f64 v[8:9], v[10:11], v[vgprValuC+16:vgprValuC+16+1] // desired value
_buffer_atomic_cmpswap_b64 v[8:11], v6, s[sgprSrdD:sgprSrdD+3] 0 offen offset:0 glc   // attempt write
v_add_f64 v[12:13], v[14:15], v[vgprValuC+18:vgprValuC+18+1] // desired value
_buffer_atomic_cmpswap_b64 v[12:15], v6, s[sgprSrdD:sgprSrdD+3] 0 offen offset:8 glc   // attempt write
s_waitcnt vmcnt(0)                                 // wait for atomic writes

/* check success of writes, update masks */
v_cmp_ne_u64 s[42:43], v[8:9], v[10:11]            // c read during atomic != c read during prior load
v_cmp_ne_u64 s[44:45], v[12:13], v[14:15]          // c read during atomic != c read during prior load

/* or masks to check for exit */
s_mov_b64 s[38:39], 0x0                            // empty mask
s_or_b64 s[38:39], s[42:43], s[38:39]              // or to add threads
s_or_b64 s[38:39], s[44:45], s[38:39]              // or to add threads
s_or_saveexec_b64 s[40:41], s[38:39]               // apply combined mask
s_cbranch_execz label_0048                         // if exec is zero skip loop

/* atomic CAS loop */
label_0047:

/* apply updated masks and issue writes again */
s_mov_b64 exec, s[42:43]                           // must try again
v_mov_b32 v10, v8                                  // dataV+2 = tmp (new original C)
v_mov_b32 v11, v9                                  // dataV+3 = tmp (new original C)
v_add_f64 v[8:9], v[10:11], v[vgprValuC+16:vgprValuC+16+1] // newC = rC + originalC
_buffer_atomic_cmpswap_b64 v[8:11], v6, s[sgprSrdD:sgprSrdD+3] 0 offen offset:0 glc   // attempt write
s_mov_b64 exec, s[44:45]                           // must try again
v_mov_b32 v14, v12                                 // dataV+2 = tmp (new original C)
v_mov_b32 v15, v13                                 // dataV+3 = tmp (new original C)
v_add_f64 v[12:13], v[14:15], v[vgprValuC+18:vgprValuC+18+1] // newC = rC + originalC
_buffer_atomic_cmpswap_b64 v[12:15], v6, s[sgprSrdD:sgprSrdD+3] 0 offen offset:8 glc   // attempt write
s_waitcnt vmcnt(0)                                 // wait for atomic writes

/* apply masks and check for success */
s_mov_b64 exec, s[42:43]                           // must try again
v_cmp_ne_u64 s[38:39], v[8:9], v[10:11]            // c read during atomic != c read during prior load
s_and_b64 s[42:43], s[38:39], s[42:43]             // inBounds & must try again
s_mov_b64 exec, s[44:45]                           // must try again
v_cmp_ne_u64 s[38:39], v[12:13], v[14:15]          // c read during atomic != c read during prior load
s_and_b64 s[44:45], s[38:39], s[44:45]             // inBounds & must try again

/* or masks to check for exit */
s_mov_b64 s[38:39], 0x0                            // empty mask
s_or_b64 s[38:39], s[42:43], s[38:39]              // or to add threads
s_or_b64 s[38:39], s[44:45], s[38:39]              // or to add threads
s_or_saveexec_b64 s[40:41], s[38:39]               // apply combined mask
s_cbranch_execnz label_0047                        // try again if not complete
label_0048:
s_mov_b64 exec, -1                                 // full mask -> exec
s_nop 0                                            // 1 wait state required when next inst writes vgprs held by previous dwordx4 store inst
s_branch label_GW_End_28                           // jump to end
GW_B0_E1_26:

/* edge=1, allocate 6 sgpr. perBatchTmpS=4 perBatchMaskS=0 perElementMaskS=2 elementsPerBatch=1 */
/* optSingleColVgpr=0 optSharedColVgpr=0 optSGPRUsage=None optSrdIncForRow=0 */
s_sleep 5 // optimization: sync and wait
s_barrier

/******************************************/
/* Global Write Alpha Edge Batch #0 (d1,d0,vc1,vc0) = */
/*    (0,0,0,0:vw1:vaw:1)                 */
/******************************************/

/* calc coords, apply mask, and issue loads (if necessary) */
/* (d1,vc1,d0,vc0)=(0,0,0,0) */
v_cmp_lt_u32 s[38:39], v0, s[sgprSizeI]            // coord0 < size0
v_cmp_lt_u32 s[42:43], v1, s[sgprSizeJ]            // coord1 < size1
s_and_b64 s[42:43], s[38:39], s[42:43]             // in0 && in1
_v_add_lshl_u32 v6, v3, v0, 0x3                    // scaleToBpe: accumulate d0 lower and *= bpe into Cin addr
v_cndmask_b32 v6, -1, v6, s[42:43]                 // LDD clip if OOB. offset
_buffer_load_b64 v[10:11], v6, s[sgprSrdD:sgprSrdD+3], 0, offen offset:0 // load D (atomic) bpm=8 vaw=1
v_accvgpr_read_b32 v[vgprValuC+12], acc0 // copy acc to vreg[0]
v_accvgpr_read_b32 v[vgprValuC+13], acc1 // copy acc to vreg[1]
s_nop 1                                            // 2 wait states required before reading vgpr

/* rC *= alpha batchElements=[(0, 0, 0, 0)] */
v_mul_f64 v[vgprValuC+12:vgprValuC+12+1], s[sgprAlpha:sgprAlpha+1], v[vgprValuC+12:vgprValuC+12+1] // *= alpha
s_waitcnt vmcnt(0)                                 // wait C (atomic)

/* issue first atomic writes */
s_mov_b64 exec, s[42:43]                           // sgprs -> exec (before atomic)
v_add_f64 v[8:9], v[10:11], v[vgprValuC+12:vgprValuC+12+1] // desired value
_buffer_atomic_cmpswap_b64 v[8:11], v6, s[sgprSrdD:sgprSrdD+3] 0 offen offset:0 glc   // attempt write
s_waitcnt vmcnt(0)                                 // wait for atomic writes

/* check success of writes, update masks */
s_mov_b64 exec, s[42:43]                           // sgprs -> exec
v_cmp_ne_u64 s[38:39], v[8:9], v[10:11]            // c read during atomic != c read during prior load
s_and_b64 s[42:43], s[38:39], s[42:43]             // inBounds & must try again

/* or masks to check for exit */
s_mov_b64 s[38:39], 0x0                            // empty mask
s_or_b64 s[38:39], s[42:43], s[38:39]              // or to add threads
s_or_saveexec_b64 s[40:41], s[38:39]               // apply combined mask
s_cbranch_execz label_0050                         // if exec is zero skip loop

/* atomic CAS loop */
label_0049:

/* apply updated masks and issue writes again */
s_mov_b64 exec, s[42:43]                           // must try again
v_mov_b32 v10, v8                                  // dataV+2 = tmp (new original C)
v_mov_b32 v11, v9                                  // dataV+3 = tmp (new original C)
v_add_f64 v[8:9], v[10:11], v[vgprValuC+12:vgprValuC+12+1] // newC = rC + originalC
_buffer_atomic_cmpswap_b64 v[8:11], v6, s[sgprSrdD:sgprSrdD+3] 0 offen offset:0 glc   // attempt write
s_waitcnt vmcnt(0)                                 // wait for atomic writes

/* apply masks and check for success */
s_mov_b64 exec, s[42:43]                           // must try again
v_cmp_ne_u64 s[38:39], v[8:9], v[10:11]            // c read during atomic != c read during prior load
s_and_b64 s[42:43], s[38:39], s[42:43]             // inBounds & must try again

/* or masks to check for exit */
s_mov_b64 s[38:39], 0x0                            // empty mask
s_or_b64 s[38:39], s[42:43], s[38:39]              // or to add threads
s_or_saveexec_b64 s[40:41], s[38:39]               // apply combined mask
s_cbranch_execnz label_0049                        // try again if not complete
label_0050:
s_mov_b64 exec, -1                                 // full mask -> exec
s_nop 0                                            // 1 wait state required when next inst writes vgprs held by previous dwordx4 store inst
/* optSingleColVgpr=0 optSharedColVgpr=0 optSGPRUsage=None optSrdIncForRow=0 */
s_sleep 5 // optimization: sync and wait
s_barrier

/******************************************/
/* Global Write Alpha Edge Batch #1 (d1,d0,vc1,vc0) = */
/*    (0,0,0,1:vw1:vaw:1)                 */
/******************************************/

/* calc coords, apply mask, and issue loads (if necessary) */
/* (d1,vc1,d0,vc0)=(0,0,0,1) */
_v_add_co_u32 v4, vcc, v0, 1                       // coord0.1: coord0 += d0*sg0*VW + vc0
v_cmp_lt_u32 s[38:39], v4, s[sgprSizeI]            // coord0 < size0
v_cmp_lt_u32 s[42:43], v1, s[sgprSizeJ]            // coord1 < size1
s_and_b64 s[42:43], s[38:39], s[42:43]             // in0 && in1
_v_add_lshl_u32 v6, v3, v4, 0x3                    // scaleToBpe: accumulate d0 lower and *= bpe into Cin addr
v_cndmask_b32 v6, -1, v6, s[42:43]                 // LDD clip if OOB. offset
_buffer_load_b64 v[10:11], v6, s[sgprSrdD:sgprSrdD+3], 0, offen offset:0 // load D (atomic) bpm=8 vaw=1
v_accvgpr_read_b32 v[vgprValuC+12], acc8 // copy acc to vreg[2]
v_accvgpr_read_b32 v[vgprValuC+13], acc9 // copy acc to vreg[3]
s_nop 1                                            // 2 wait states required before reading vgpr

/* rC *= alpha batchElements=[(0, 0, 0, 1)] */
v_mul_f64 v[vgprValuC+12:vgprValuC+12+1], s[sgprAlpha:sgprAlpha+1], v[vgprValuC+12:vgprValuC+12+1] // *= alpha
s_waitcnt vmcnt(0)                                 // wait C (atomic)

/* issue first atomic writes */
s_mov_b64 exec, s[42:43]                           // sgprs -> exec (before atomic)
v_add_f64 v[8:9], v[10:11], v[vgprValuC+12:vgprValuC+12+1] // desired value
_buffer_atomic_cmpswap_b64 v[8:11], v6, s[sgprSrdD:sgprSrdD+3] 0 offen offset:0 glc   // attempt write
s_waitcnt vmcnt(0)                                 // wait for atomic writes

/* check success of writes, update masks */
s_mov_b64 exec, s[42:43]                           // sgprs -> exec
v_cmp_ne_u64 s[38:39], v[8:9], v[10:11]            // c read during atomic != c read during prior load
s_and_b64 s[42:43], s[38:39], s[42:43]             // inBounds & must try again

/* or masks to check for exit */
s_mov_b64 s[38:39], 0x0                            // empty mask
s_or_b64 s[38:39], s[42:43], s[38:39]              // or to add threads
s_or_saveexec_b64 s[40:41], s[38:39]               // apply combined mask
s_cbranch_execz label_0052                         // if exec is zero skip loop

/* atomic CAS loop */
label_0051:

/* apply updated masks and issue writes again */
s_mov_b64 exec, s[42:43]                           // must try again
v_mov_b32 v10, v8                                  // dataV+2 = tmp (new original C)
v_mov_b32 v11, v9                                  // dataV+3 = tmp (new original C)
v_add_f64 v[8:9], v[10:11], v[vgprValuC+12:vgprValuC+12+1] // newC = rC + originalC
_buffer_atomic_cmpswap_b64 v[8:11], v6, s[sgprSrdD:sgprSrdD+3] 0 offen offset:0 glc   // attempt write
s_waitcnt vmcnt(0)                                 // wait for atomic writes

/* apply masks and check for success */
s_mov_b64 exec, s[42:43]                           // must try again
v_cmp_ne_u64 s[38:39], v[8:9], v[10:11]            // c read during atomic != c read during prior load
s_and_b64 s[42:43], s[38:39], s[42:43]             // inBounds & must try again

/* or masks to check for exit */
s_mov_b64 s[38:39], 0x0                            // empty mask
s_or_b64 s[38:39], s[42:43], s[38:39]              // or to add threads
s_or_saveexec_b64 s[40:41], s[38:39]               // apply combined mask
s_cbranch_execnz label_0051                        // try again if not complete
label_0052:
s_mov_b64 exec, -1                                 // full mask -> exec
s_nop 0                                            // 1 wait state required when next inst writes vgprs held by previous dwordx4 store inst
/* optSingleColVgpr=0 optSharedColVgpr=0 optSGPRUsage=None optSrdIncForRow=0 */
s_sleep 5 // optimization: sync and wait
s_barrier

/******************************************/
/* Global Write Alpha Edge Batch #2 (d1,d0,vc1,vc0) = */
/*    (0,1,0,0:vw1:vaw:1)                 */
/******************************************/

/* calc coords, apply mask, and issue loads (if necessary) */
/* (d1,vc1,d0,vc0)=(0,0,1,0) */
_v_add_co_u32 v4, vcc, v0, 64                      // coord0.1: coord0 += d0*sg0*VW + vc0
v_cmp_lt_u32 s[38:39], v4, s[sgprSizeI]            // coord0 < size0
v_cmp_lt_u32 s[42:43], v1, s[sgprSizeJ]            // coord1 < size1
s_and_b64 s[42:43], s[38:39], s[42:43]             // in0 && in1
_v_add_lshl_u32 v6, v3, v4, 0x3                    // scaleToBpe: accumulate d0 lower and *= bpe into Cin addr
v_cndmask_b32 v6, -1, v6, s[42:43]                 // LDD clip if OOB. offset
_buffer_load_b64 v[10:11], v6, s[sgprSrdD:sgprSrdD+3], 0, offen offset:0 // load D (atomic) bpm=8 vaw=1
v_accvgpr_read_b32 v[vgprValuC+12], acc16 // copy acc to vreg[4]
v_accvgpr_read_b32 v[vgprValuC+13], acc17 // copy acc to vreg[5]
s_nop 1                                            // 2 wait states required before reading vgpr

/* rC *= alpha batchElements=[(0, 1, 0, 0)] */
v_mul_f64 v[vgprValuC+12:vgprValuC+12+1], s[sgprAlpha:sgprAlpha+1], v[vgprValuC+12:vgprValuC+12+1] // *= alpha
s_waitcnt vmcnt(0)                                 // wait C (atomic)

/* issue first atomic writes */
s_mov_b64 exec, s[42:43]                           // sgprs -> exec (before atomic)
v_add_f64 v[8:9], v[10:11], v[vgprValuC+12:vgprValuC+12+1] // desired value
_buffer_atomic_cmpswap_b64 v[8:11], v6, s[sgprSrdD:sgprSrdD+3] 0 offen offset:0 glc   // attempt write
s_waitcnt vmcnt(0)                                 // wait for atomic writes

/* check success of writes, update masks */
s_mov_b64 exec, s[42:43]                           // sgprs -> exec
v_cmp_ne_u64 s[38:39], v[8:9], v[10:11]            // c read during atomic != c read during prior load
s_and_b64 s[42:43], s[38:39], s[42:43]             // inBounds & must try again

/* or masks to check for exit */
s_mov_b64 s[38:39], 0x0                            // empty mask
s_or_b64 s[38:39], s[42:43], s[38:39]              // or to add threads
s_or_saveexec_b64 s[40:41], s[38:39]               // apply combined mask
s_cbranch_execz label_0054                         // if exec is zero skip loop

/* atomic CAS loop */
label_0053:

/* apply updated masks and issue writes again */
s_mov_b64 exec, s[42:43]                           // must try again
v_mov_b32 v10, v8                                  // dataV+2 = tmp (new original C)
v_mov_b32 v11, v9                                  // dataV+3 = tmp (new original C)
v_add_f64 v[8:9], v[10:11], v[vgprValuC+12:vgprValuC+12+1] // newC = rC + originalC
_buffer_atomic_cmpswap_b64 v[8:11], v6, s[sgprSrdD:sgprSrdD+3] 0 offen offset:0 glc   // attempt write
s_waitcnt vmcnt(0)                                 // wait for atomic writes

/* apply masks and check for success */
s_mov_b64 exec, s[42:43]                           // must try again
v_cmp_ne_u64 s[38:39], v[8:9], v[10:11]            // c read during atomic != c read during prior load
s_and_b64 s[42:43], s[38:39], s[42:43]             // inBounds & must try again

/* or masks to check for exit */
s_mov_b64 s[38:39], 0x0                            // empty mask
s_or_b64 s[38:39], s[42:43], s[38:39]              // or to add threads
s_or_saveexec_b64 s[40:41], s[38:39]               // apply combined mask
s_cbranch_execnz label_0053                        // try again if not complete
label_0054:
s_mov_b64 exec, -1                                 // full mask -> exec
s_nop 0                                            // 1 wait state required when next inst writes vgprs held by previous dwordx4 store inst
/* optSingleColVgpr=0 optSharedColVgpr=0 optSGPRUsage=None optSrdIncForRow=0 */
s_sleep 5 // optimization: sync and wait
s_barrier

/******************************************/
/* Global Write Alpha Edge Batch #3 (d1,d0,vc1,vc0) = */
/*    (0,1,0,1:vw1:vaw:1)                 */
/******************************************/

/* calc coords, apply mask, and issue loads (if necessary) */
/* (d1,vc1,d0,vc0)=(0,0,1,1) */
s_mov_b32 s38, 65                                  // coordOffset0 d0=1 vc0=1
_v_add_co_u32 v4, vcc, v0, s38                     // coord0.2: coord0 += d0*sg0*VW + vc0
v_cmp_lt_u32 s[38:39], v4, s[sgprSizeI]            // coord0 < size0
v_cmp_lt_u32 s[42:43], v1, s[sgprSizeJ]            // coord1 < size1
s_and_b64 s[42:43], s[38:39], s[42:43]             // in0 && in1
_v_add_lshl_u32 v6, v3, v4, 0x3                    // scaleToBpe: accumulate d0 lower and *= bpe into Cin addr
v_cndmask_b32 v6, -1, v6, s[42:43]                 // LDD clip if OOB. offset
_buffer_load_b64 v[10:11], v6, s[sgprSrdD:sgprSrdD+3], 0, offen offset:0 // load D (atomic) bpm=8 vaw=1
v_accvgpr_read_b32 v[vgprValuC+12], acc24 // copy acc to vreg[6]
v_accvgpr_read_b32 v[vgprValuC+13], acc25 // copy acc to vreg[7]
s_nop 1                                            // 2 wait states required before reading vgpr

/* rC *= alpha batchElements=[(0, 1, 0, 1)] */
v_mul_f64 v[vgprValuC+12:vgprValuC+12+1], s[sgprAlpha:sgprAlpha+1], v[vgprValuC+12:vgprValuC+12+1] // *= alpha
s_waitcnt vmcnt(0)                                 // wait C (atomic)

/* issue first atomic writes */
s_mov_b64 exec, s[42:43]                           // sgprs -> exec (before atomic)
v_add_f64 v[8:9], v[10:11], v[vgprValuC+12:vgprValuC+12+1] // desired value
_buffer_atomic_cmpswap_b64 v[8:11], v6, s[sgprSrdD:sgprSrdD+3] 0 offen offset:0 glc   // attempt write
s_waitcnt vmcnt(0)                                 // wait for atomic writes

/* check success of writes, update masks */
s_mov_b64 exec, s[42:43]                           // sgprs -> exec
v_cmp_ne_u64 s[38:39], v[8:9], v[10:11]            // c read during atomic != c read during prior load
s_and_b64 s[42:43], s[38:39], s[42:43]             // inBounds & must try again

/* or masks to check for exit */
s_mov_b64 s[38:39], 0x0                            // empty mask
s_or_b64 s[38:39], s[42:43], s[38:39]              // or to add threads
s_or_saveexec_b64 s[40:41], s[38:39]               // apply combined mask
s_cbranch_execz label_0056                         // if exec is zero skip loop

/* atomic CAS loop */
label_0055:

/* apply updated masks and issue writes again */
s_mov_b64 exec, s[42:43]                           // must try again
v_mov_b32 v10, v8                                  // dataV+2 = tmp (new original C)
v_mov_b32 v11, v9                                  // dataV+3 = tmp (new original C)
v_add_f64 v[8:9], v[10:11], v[vgprValuC+12:vgprValuC+12+1] // newC = rC + originalC
_buffer_atomic_cmpswap_b64 v[8:11], v6, s[sgprSrdD:sgprSrdD+3] 0 offen offset:0 glc   // attempt write
s_waitcnt vmcnt(0)                                 // wait for atomic writes

/* apply masks and check for success */
s_mov_b64 exec, s[42:43]                           // must try again
v_cmp_ne_u64 s[38:39], v[8:9], v[10:11]            // c read during atomic != c read during prior load
s_and_b64 s[42:43], s[38:39], s[42:43]             // inBounds & must try again

/* or masks to check for exit */
s_mov_b64 s[38:39], 0x0                            // empty mask
s_or_b64 s[38:39], s[42:43], s[38:39]              // or to add threads
s_or_saveexec_b64 s[40:41], s[38:39]               // apply combined mask
s_cbranch_execnz label_0055                        // try again if not complete
label_0056:
s_mov_b64 exec, -1                                 // full mask -> exec
s_nop 0                                            // 1 wait state required when next inst writes vgprs held by previous dwordx4 store inst
/* optSingleColVgpr=0 optSharedColVgpr=0 optSGPRUsage=None optSrdIncForRow=0 */
s_sleep 5 // optimization: sync and wait
s_barrier

/******************************************/
/* Global Write Alpha Edge Batch #4 (d1,d0,vc1,vc0) = */
/*    (1,0,0,0:vw1:vaw:1)                 */
/******************************************/

/* calc coords, apply mask, and issue loads (if necessary) */
/* (d1,vc1,d0,vc0)=(1,0,0,0) */
_v_add_co_u32 v1, vcc, v1, 4                       // coord1.1: coord1Vgpr += d1*sg1*VW + vc1

/* Fix for UseInitialStridesCD, emitAddressSetupCode */
s_mul_i32 s38, s[sgprStrideC1J], 4                 // scale stride
_v_add_u32 v2, v2, s38                             // ROWINC- Move cinRowPtr to next row
s_mul_i32 s38, s[sgprStrideD1J], 4                 // scale stride
_v_add_u32 v3, v3, s38                             // Move coutRowPtr to next row
v_cmp_lt_u32 s[38:39], v0, s[sgprSizeI]            // coord0 < size0
v_cmp_lt_u32 s[42:43], v1, s[sgprSizeJ]            // coord1 < size1
s_and_b64 s[42:43], s[38:39], s[42:43]             // in0 && in1
_v_add_lshl_u32 v6, v3, v0, 0x3                    // scaleToBpe: accumulate d0 lower and *= bpe into Cin addr
v_cndmask_b32 v6, -1, v6, s[42:43]                 // LDD clip if OOB. offset
_buffer_load_b64 v[10:11], v6, s[sgprSrdD:sgprSrdD+3], 0, offen offset:0 // load D (atomic) bpm=8 vaw=1
v_accvgpr_read_b32 v[vgprValuC+12], acc2 // copy acc to vreg[8]
v_accvgpr_read_b32 v[vgprValuC+13], acc3 // copy acc to vreg[9]
s_nop 1                                            // 2 wait states required before reading vgpr

/* rC *= alpha batchElements=[(1, 0, 0, 0)] */
v_mul_f64 v[vgprValuC+12:vgprValuC+12+1], s[sgprAlpha:sgprAlpha+1], v[vgprValuC+12:vgprValuC+12+1] // *= alpha
s_waitcnt vmcnt(0)                                 // wait C (atomic)

/* issue first atomic writes */
s_mov_b64 exec, s[42:43]                           // sgprs -> exec (before atomic)
v_add_f64 v[8:9], v[10:11], v[vgprValuC+12:vgprValuC+12+1] // desired value
_buffer_atomic_cmpswap_b64 v[8:11], v6, s[sgprSrdD:sgprSrdD+3] 0 offen offset:0 glc   // attempt write
s_waitcnt vmcnt(0)                                 // wait for atomic writes

/* check success of writes, update masks */
s_mov_b64 exec, s[42:43]                           // sgprs -> exec
v_cmp_ne_u64 s[38:39], v[8:9], v[10:11]            // c read during atomic != c read during prior load
s_and_b64 s[42:43], s[38:39], s[42:43]             // inBounds & must try again

/* or masks to check for exit */
s_mov_b64 s[38:39], 0x0                            // empty mask
s_or_b64 s[38:39], s[42:43], s[38:39]              // or to add threads
s_or_saveexec_b64 s[40:41], s[38:39]               // apply combined mask
s_cbranch_execz label_0058                         // if exec is zero skip loop

/* atomic CAS loop */
label_0057:

/* apply updated masks and issue writes again */
s_mov_b64 exec, s[42:43]                           // must try again
v_mov_b32 v10, v8                                  // dataV+2 = tmp (new original C)
v_mov_b32 v11, v9                                  // dataV+3 = tmp (new original C)
v_add_f64 v[8:9], v[10:11], v[vgprValuC+12:vgprValuC+12+1] // newC = rC + originalC
_buffer_atomic_cmpswap_b64 v[8:11], v6, s[sgprSrdD:sgprSrdD+3] 0 offen offset:0 glc   // attempt write
s_waitcnt vmcnt(0)                                 // wait for atomic writes

/* apply masks and check for success */
s_mov_b64 exec, s[42:43]                           // must try again
v_cmp_ne_u64 s[38:39], v[8:9], v[10:11]            // c read during atomic != c read during prior load
s_and_b64 s[42:43], s[38:39], s[42:43]             // inBounds & must try again

/* or masks to check for exit */
s_mov_b64 s[38:39], 0x0                            // empty mask
s_or_b64 s[38:39], s[42:43], s[38:39]              // or to add threads
s_or_saveexec_b64 s[40:41], s[38:39]               // apply combined mask
s_cbranch_execnz label_0057                        // try again if not complete
label_0058:
s_mov_b64 exec, -1                                 // full mask -> exec
s_nop 0                                            // 1 wait state required when next inst writes vgprs held by previous dwordx4 store inst
/* optSingleColVgpr=0 optSharedColVgpr=0 optSGPRUsage=None optSrdIncForRow=0 */
s_sleep 5 // optimization: sync and wait
s_barrier

/******************************************/
/* Global Write Alpha Edge Batch #5 (d1,d0,vc1,vc0) = */
/*    (1,0,0,1:vw1:vaw:1)                 */
/******************************************/

/* calc coords, apply mask, and issue loads (if necessary) */
/* (d1,vc1,d0,vc0)=(1,0,0,1) */
_v_add_co_u32 v4, vcc, v0, 1                       // coord0.1: coord0 += d0*sg0*VW + vc0
v_cmp_lt_u32 s[38:39], v4, s[sgprSizeI]            // coord0 < size0
v_cmp_lt_u32 s[42:43], v1, s[sgprSizeJ]            // coord1 < size1
s_and_b64 s[42:43], s[38:39], s[42:43]             // in0 && in1
_v_add_lshl_u32 v6, v3, v4, 0x3                    // scaleToBpe: accumulate d0 lower and *= bpe into Cin addr
v_cndmask_b32 v6, -1, v6, s[42:43]                 // LDD clip if OOB. offset
_buffer_load_b64 v[10:11], v6, s[sgprSrdD:sgprSrdD+3], 0, offen offset:0 // load D (atomic) bpm=8 vaw=1
v_accvgpr_read_b32 v[vgprValuC+12], acc10 // copy acc to vreg[10]
v_accvgpr_read_b32 v[vgprValuC+13], acc11 // copy acc to vreg[11]
s_nop 1                                            // 2 wait states required before reading vgpr

/* rC *= alpha batchElements=[(1, 0, 0, 1)] */
v_mul_f64 v[vgprValuC+12:vgprValuC+12+1], s[sgprAlpha:sgprAlpha+1], v[vgprValuC+12:vgprValuC+12+1] // *= alpha
s_waitcnt vmcnt(0)                                 // wait C (atomic)

/* issue first atomic writes */
s_mov_b64 exec, s[42:43]                           // sgprs -> exec (before atomic)
v_add_f64 v[8:9], v[10:11], v[vgprValuC+12:vgprValuC+12+1] // desired value
_buffer_atomic_cmpswap_b64 v[8:11], v6, s[sgprSrdD:sgprSrdD+3] 0 offen offset:0 glc   // attempt write
s_waitcnt vmcnt(0)                                 // wait for atomic writes

/* check success of writes, update masks */
s_mov_b64 exec, s[42:43]                           // sgprs -> exec
v_cmp_ne_u64 s[38:39], v[8:9], v[10:11]            // c read during atomic != c read during prior load
s_and_b64 s[42:43], s[38:39], s[42:43]             // inBounds & must try again

/* or masks to check for exit */
s_mov_b64 s[38:39], 0x0                            // empty mask
s_or_b64 s[38:39], s[42:43], s[38:39]              // or to add threads
s_or_saveexec_b64 s[40:41], s[38:39]               // apply combined mask
s_cbranch_execz label_0060                         // if exec is zero skip loop

/* atomic CAS loop */
label_0059:

/* apply updated masks and issue writes again */
s_mov_b64 exec, s[42:43]                           // must try again
v_mov_b32 v10, v8                                  // dataV+2 = tmp (new original C)
v_mov_b32 v11, v9                                  // dataV+3 = tmp (new original C)
v_add_f64 v[8:9], v[10:11], v[vgprValuC+12:vgprValuC+12+1] // newC = rC + originalC
_buffer_atomic_cmpswap_b64 v[8:11], v6, s[sgprSrdD:sgprSrdD+3] 0 offen offset:0 glc   // attempt write
s_waitcnt vmcnt(0)                                 // wait for atomic writes

/* apply masks and check for success */
s_mov_b64 exec, s[42:43]                           // must try again
v_cmp_ne_u64 s[38:39], v[8:9], v[10:11]            // c read during atomic != c read during prior load
s_and_b64 s[42:43], s[38:39], s[42:43]             // inBounds & must try again

/* or masks to check for exit */
s_mov_b64 s[38:39], 0x0                            // empty mask
s_or_b64 s[38:39], s[42:43], s[38:39]              // or to add threads
s_or_saveexec_b64 s[40:41], s[38:39]               // apply combined mask
s_cbranch_execnz label_0059                        // try again if not complete
label_0060:
s_mov_b64 exec, -1                                 // full mask -> exec
s_nop 0                                            // 1 wait state required when next inst writes vgprs held by previous dwordx4 store inst
/* optSingleColVgpr=0 optSharedColVgpr=0 optSGPRUsage=None optSrdIncForRow=0 */
s_sleep 5 // optimization: sync and wait
s_barrier

/******************************************/
/* Global Write Alpha Edge Batch #6 (d1,d0,vc1,vc0) = */
/*    (1,1,0,0:vw1:vaw:1)                 */
/******************************************/

/* calc coords, apply mask, and issue loads (if necessary) */
/* (d1,vc1,d0,vc0)=(1,0,1,0) */
_v_add_co_u32 v4, vcc, v0, 64                      // coord0.1: coord0 += d0*sg0*VW + vc0
v_cmp_lt_u32 s[38:39], v4, s[sgprSizeI]            // coord0 < size0
v_cmp_lt_u32 s[42:43], v1, s[sgprSizeJ]            // coord1 < size1
s_and_b64 s[42:43], s[38:39], s[42:43]             // in0 && in1
_v_add_lshl_u32 v6, v3, v4, 0x3                    // scaleToBpe: accumulate d0 lower and *= bpe into Cin addr
v_cndmask_b32 v6, -1, v6, s[42:43]                 // LDD clip if OOB. offset
_buffer_load_b64 v[10:11], v6, s[sgprSrdD:sgprSrdD+3], 0, offen offset:0 // load D (atomic) bpm=8 vaw=1
v_accvgpr_read_b32 v[vgprValuC+12], acc18 // copy acc to vreg[12]
v_accvgpr_read_b32 v[vgprValuC+13], acc19 // copy acc to vreg[13]
s_nop 1                                            // 2 wait states required before reading vgpr

/* rC *= alpha batchElements=[(1, 1, 0, 0)] */
v_mul_f64 v[vgprValuC+12:vgprValuC+12+1], s[sgprAlpha:sgprAlpha+1], v[vgprValuC+12:vgprValuC+12+1] // *= alpha
s_waitcnt vmcnt(0)                                 // wait C (atomic)

/* issue first atomic writes */
s_mov_b64 exec, s[42:43]                           // sgprs -> exec (before atomic)
v_add_f64 v[8:9], v[10:11], v[vgprValuC+12:vgprValuC+12+1] // desired value
_buffer_atomic_cmpswap_b64 v[8:11], v6, s[sgprSrdD:sgprSrdD+3] 0 offen offset:0 glc   // attempt write
s_waitcnt vmcnt(0)                                 // wait for atomic writes

/* check success of writes, update masks */
s_mov_b64 exec, s[42:43]                           // sgprs -> exec
v_cmp_ne_u64 s[38:39], v[8:9], v[10:11]            // c read during atomic != c read during prior load
s_and_b64 s[42:43], s[38:39], s[42:43]             // inBounds & must try again

/* or masks to check for exit */
s_mov_b64 s[38:39], 0x0                            // empty mask
s_or_b64 s[38:39], s[42:43], s[38:39]              // or to add threads
s_or_saveexec_b64 s[40:41], s[38:39]               // apply combined mask
s_cbranch_execz label_0062                         // if exec is zero skip loop

/* atomic CAS loop */
label_0061:

/* apply updated masks and issue writes again */
s_mov_b64 exec, s[42:43]                           // must try again
v_mov_b32 v10, v8                                  // dataV+2 = tmp (new original C)
v_mov_b32 v11, v9                                  // dataV+3 = tmp (new original C)
v_add_f64 v[8:9], v[10:11], v[vgprValuC+12:vgprValuC+12+1] // newC = rC + originalC
_buffer_atomic_cmpswap_b64 v[8:11], v6, s[sgprSrdD:sgprSrdD+3] 0 offen offset:0 glc   // attempt write
s_waitcnt vmcnt(0)                                 // wait for atomic writes

/* apply masks and check for success */
s_mov_b64 exec, s[42:43]                           // must try again
v_cmp_ne_u64 s[38:39], v[8:9], v[10:11]            // c read during atomic != c read during prior load
s_and_b64 s[42:43], s[38:39], s[42:43]             // inBounds & must try again

/* or masks to check for exit */
s_mov_b64 s[38:39], 0x0                            // empty mask
s_or_b64 s[38:39], s[42:43], s[38:39]              // or to add threads
s_or_saveexec_b64 s[40:41], s[38:39]               // apply combined mask
s_cbranch_execnz label_0061                        // try again if not complete
label_0062:
s_mov_b64 exec, -1                                 // full mask -> exec
s_nop 0                                            // 1 wait state required when next inst writes vgprs held by previous dwordx4 store inst
/* optSingleColVgpr=0 optSharedColVgpr=0 optSGPRUsage=None optSrdIncForRow=0 */
s_sleep 5 // optimization: sync and wait
s_barrier

/******************************************/
/* Global Write Alpha Edge Batch #7 (d1,d0,vc1,vc0) = */
/*    (1,1,0,1:vw1:vaw:1)                 */
/******************************************/

/* calc coords, apply mask, and issue loads (if necessary) */
/* (d1,vc1,d0,vc0)=(1,0,1,1) */
s_mov_b32 s38, 65                                  // coordOffset0 d0=1 vc0=1
_v_add_co_u32 v4, vcc, v0, s38                     // coord0.2: coord0 += d0*sg0*VW + vc0
v_cmp_lt_u32 s[38:39], v4, s[sgprSizeI]            // coord0 < size0
v_cmp_lt_u32 s[42:43], v1, s[sgprSizeJ]            // coord1 < size1
s_and_b64 s[42:43], s[38:39], s[42:43]             // in0 && in1
_v_add_lshl_u32 v6, v3, v4, 0x3                    // scaleToBpe: accumulate d0 lower and *= bpe into Cin addr
v_cndmask_b32 v6, -1, v6, s[42:43]                 // LDD clip if OOB. offset
_buffer_load_b64 v[10:11], v6, s[sgprSrdD:sgprSrdD+3], 0, offen offset:0 // load D (atomic) bpm=8 vaw=1
v_accvgpr_read_b32 v[vgprValuC+12], acc26 // copy acc to vreg[14]
v_accvgpr_read_b32 v[vgprValuC+13], acc27 // copy acc to vreg[15]
s_nop 1                                            // 2 wait states required before reading vgpr

/* rC *= alpha batchElements=[(1, 1, 0, 1)] */
v_mul_f64 v[vgprValuC+12:vgprValuC+12+1], s[sgprAlpha:sgprAlpha+1], v[vgprValuC+12:vgprValuC+12+1] // *= alpha
s_waitcnt vmcnt(0)                                 // wait C (atomic)

/* issue first atomic writes */
s_mov_b64 exec, s[42:43]                           // sgprs -> exec (before atomic)
v_add_f64 v[8:9], v[10:11], v[vgprValuC+12:vgprValuC+12+1] // desired value
_buffer_atomic_cmpswap_b64 v[8:11], v6, s[sgprSrdD:sgprSrdD+3] 0 offen offset:0 glc   // attempt write
s_waitcnt vmcnt(0)                                 // wait for atomic writes

/* check success of writes, update masks */
s_mov_b64 exec, s[42:43]                           // sgprs -> exec
v_cmp_ne_u64 s[38:39], v[8:9], v[10:11]            // c read during atomic != c read during prior load
s_and_b64 s[42:43], s[38:39], s[42:43]             // inBounds & must try again

/* or masks to check for exit */
s_mov_b64 s[38:39], 0x0                            // empty mask
s_or_b64 s[38:39], s[42:43], s[38:39]              // or to add threads
s_or_saveexec_b64 s[40:41], s[38:39]               // apply combined mask
s_cbranch_execz label_0064                         // if exec is zero skip loop

/* atomic CAS loop */
label_0063:

/* apply updated masks and issue writes again */
s_mov_b64 exec, s[42:43]                           // must try again
v_mov_b32 v10, v8                                  // dataV+2 = tmp (new original C)
v_mov_b32 v11, v9                                  // dataV+3 = tmp (new original C)
v_add_f64 v[8:9], v[10:11], v[vgprValuC+12:vgprValuC+12+1] // newC = rC + originalC
_buffer_atomic_cmpswap_b64 v[8:11], v6, s[sgprSrdD:sgprSrdD+3] 0 offen offset:0 glc   // attempt write
s_waitcnt vmcnt(0)                                 // wait for atomic writes

/* apply masks and check for success */
s_mov_b64 exec, s[42:43]                           // must try again
v_cmp_ne_u64 s[38:39], v[8:9], v[10:11]            // c read during atomic != c read during prior load
s_and_b64 s[42:43], s[38:39], s[42:43]             // inBounds & must try again

/* or masks to check for exit */
s_mov_b64 s[38:39], 0x0                            // empty mask
s_or_b64 s[38:39], s[42:43], s[38:39]              // or to add threads
s_or_saveexec_b64 s[40:41], s[38:39]               // apply combined mask
s_cbranch_execnz label_0063                        // try again if not complete
label_0064:
s_mov_b64 exec, -1                                 // full mask -> exec
s_nop 0                                            // 1 wait state required when next inst writes vgprs held by previous dwordx4 store inst
/* optSingleColVgpr=0 optSharedColVgpr=0 optSGPRUsage=None optSrdIncForRow=0 */
s_sleep 5 // optimization: sync and wait
s_barrier

/******************************************/
/* Global Write Alpha Edge Batch #8 (d1,d0,vc1,vc0) = */
/*    (2,0,0,0:vw1:vaw:1)                 */
/******************************************/

/* calc coords, apply mask, and issue loads (if necessary) */
/* (d1,vc1,d0,vc0)=(2,0,0,0) */
_v_add_co_u32 v1, vcc, v1, 4                       // coord1.1: coord1Vgpr += d1*sg1*VW + vc1

/* Fix for UseInitialStridesCD, emitAddressSetupCode */
s_mul_i32 s38, s[sgprStrideC1J], 4                 // scale stride
_v_add_u32 v2, v2, s38                             // ROWINC- Move cinRowPtr to next row
s_mul_i32 s38, s[sgprStrideD1J], 4                 // scale stride
_v_add_u32 v3, v3, s38                             // Move coutRowPtr to next row
v_cmp_lt_u32 s[38:39], v0, s[sgprSizeI]            // coord0 < size0
v_cmp_lt_u32 s[42:43], v1, s[sgprSizeJ]            // coord1 < size1
s_and_b64 s[42:43], s[38:39], s[42:43]             // in0 && in1
_v_add_lshl_u32 v6, v3, v0, 0x3                    // scaleToBpe: accumulate d0 lower and *= bpe into Cin addr
v_cndmask_b32 v6, -1, v6, s[42:43]                 // LDD clip if OOB. offset
_buffer_load_b64 v[10:11], v6, s[sgprSrdD:sgprSrdD+3], 0, offen offset:0 // load D (atomic) bpm=8 vaw=1
v_accvgpr_read_b32 v[vgprValuC+12], acc4 // copy acc to vreg[16]
v_accvgpr_read_b32 v[vgprValuC+13], acc5 // copy acc to vreg[17]
s_nop 1                                            // 2 wait states required before reading vgpr

/* rC *= alpha batchElements=[(2, 0, 0, 0)] */
v_mul_f64 v[vgprValuC+12:vgprValuC+12+1], s[sgprAlpha:sgprAlpha+1], v[vgprValuC+12:vgprValuC+12+1] // *= alpha
s_waitcnt vmcnt(0)                                 // wait C (atomic)

/* issue first atomic writes */
s_mov_b64 exec, s[42:43]                           // sgprs -> exec (before atomic)
v_add_f64 v[8:9], v[10:11], v[vgprValuC+12:vgprValuC+12+1] // desired value
_buffer_atomic_cmpswap_b64 v[8:11], v6, s[sgprSrdD:sgprSrdD+3] 0 offen offset:0 glc   // attempt write
s_waitcnt vmcnt(0)                                 // wait for atomic writes

/* check success of writes, update masks */
s_mov_b64 exec, s[42:43]                           // sgprs -> exec
v_cmp_ne_u64 s[38:39], v[8:9], v[10:11]            // c read during atomic != c read during prior load
s_and_b64 s[42:43], s[38:39], s[42:43]             // inBounds & must try again

/* or masks to check for exit */
s_mov_b64 s[38:39], 0x0                            // empty mask
s_or_b64 s[38:39], s[42:43], s[38:39]              // or to add threads
s_or_saveexec_b64 s[40:41], s[38:39]               // apply combined mask
s_cbranch_execz label_0066                         // if exec is zero skip loop

/* atomic CAS loop */
label_0065:

/* apply updated masks and issue writes again */
s_mov_b64 exec, s[42:43]                           // must try again
v_mov_b32 v10, v8                                  // dataV+2 = tmp (new original C)
v_mov_b32 v11, v9                                  // dataV+3 = tmp (new original C)
v_add_f64 v[8:9], v[10:11], v[vgprValuC+12:vgprValuC+12+1] // newC = rC + originalC
_buffer_atomic_cmpswap_b64 v[8:11], v6, s[sgprSrdD:sgprSrdD+3] 0 offen offset:0 glc   // attempt write
s_waitcnt vmcnt(0)                                 // wait for atomic writes

/* apply masks and check for success */
s_mov_b64 exec, s[42:43]                           // must try again
v_cmp_ne_u64 s[38:39], v[8:9], v[10:11]            // c read during atomic != c read during prior load
s_and_b64 s[42:43], s[38:39], s[42:43]             // inBounds & must try again

/* or masks to check for exit */
s_mov_b64 s[38:39], 0x0                            // empty mask
s_or_b64 s[38:39], s[42:43], s[38:39]              // or to add threads
s_or_saveexec_b64 s[40:41], s[38:39]               // apply combined mask
s_cbranch_execnz label_0065                        // try again if not complete
label_0066:
s_mov_b64 exec, -1                                 // full mask -> exec
s_nop 0                                            // 1 wait state required when next inst writes vgprs held by previous dwordx4 store inst
/* optSingleColVgpr=0 optSharedColVgpr=0 optSGPRUsage=None optSrdIncForRow=0 */
s_sleep 5 // optimization: sync and wait
s_barrier

/******************************************/
/* Global Write Alpha Edge Batch #9 (d1,d0,vc1,vc0) = */
/*    (2,0,0,1:vw1:vaw:1)                 */
/******************************************/

/* calc coords, apply mask, and issue loads (if necessary) */
/* (d1,vc1,d0,vc0)=(2,0,0,1) */
_v_add_co_u32 v4, vcc, v0, 1                       // coord0.1: coord0 += d0*sg0*VW + vc0
v_cmp_lt_u32 s[38:39], v4, s[sgprSizeI]            // coord0 < size0
v_cmp_lt_u32 s[42:43], v1, s[sgprSizeJ]            // coord1 < size1
s_and_b64 s[42:43], s[38:39], s[42:43]             // in0 && in1
_v_add_lshl_u32 v6, v3, v4, 0x3                    // scaleToBpe: accumulate d0 lower and *= bpe into Cin addr
v_cndmask_b32 v6, -1, v6, s[42:43]                 // LDD clip if OOB. offset
_buffer_load_b64 v[10:11], v6, s[sgprSrdD:sgprSrdD+3], 0, offen offset:0 // load D (atomic) bpm=8 vaw=1
v_accvgpr_read_b32 v[vgprValuC+12], acc12 // copy acc to vreg[18]
v_accvgpr_read_b32 v[vgprValuC+13], acc13 // copy acc to vreg[19]
s_nop 1                                            // 2 wait states required before reading vgpr

/* rC *= alpha batchElements=[(2, 0, 0, 1)] */
v_mul_f64 v[vgprValuC+12:vgprValuC+12+1], s[sgprAlpha:sgprAlpha+1], v[vgprValuC+12:vgprValuC+12+1] // *= alpha
s_waitcnt vmcnt(0)                                 // wait C (atomic)

/* issue first atomic writes */
s_mov_b64 exec, s[42:43]                           // sgprs -> exec (before atomic)
v_add_f64 v[8:9], v[10:11], v[vgprValuC+12:vgprValuC+12+1] // desired value
_buffer_atomic_cmpswap_b64 v[8:11], v6, s[sgprSrdD:sgprSrdD+3] 0 offen offset:0 glc   // attempt write
s_waitcnt vmcnt(0)                                 // wait for atomic writes

/* check success of writes, update masks */
s_mov_b64 exec, s[42:43]                           // sgprs -> exec
v_cmp_ne_u64 s[38:39], v[8:9], v[10:11]            // c read during atomic != c read during prior load
s_and_b64 s[42:43], s[38:39], s[42:43]             // inBounds & must try again

/* or masks to check for exit */
s_mov_b64 s[38:39], 0x0                            // empty mask
s_or_b64 s[38:39], s[42:43], s[38:39]              // or to add threads
s_or_saveexec_b64 s[40:41], s[38:39]               // apply combined mask
s_cbranch_execz label_0068                         // if exec is zero skip loop

/* atomic CAS loop */
label_0067:

/* apply updated masks and issue writes again */
s_mov_b64 exec, s[42:43]                           // must try again
v_mov_b32 v10, v8                                  // dataV+2 = tmp (new original C)
v_mov_b32 v11, v9                                  // dataV+3 = tmp (new original C)
v_add_f64 v[8:9], v[10:11], v[vgprValuC+12:vgprValuC+12+1] // newC = rC + originalC
_buffer_atomic_cmpswap_b64 v[8:11], v6, s[sgprSrdD:sgprSrdD+3] 0 offen offset:0 glc   // attempt write
s_waitcnt vmcnt(0)                                 // wait for atomic writes

/* apply masks and check for success */
s_mov_b64 exec, s[42:43]                           // must try again
v_cmp_ne_u64 s[38:39], v[8:9], v[10:11]            // c read during atomic != c read during prior load
s_and_b64 s[42:43], s[38:39], s[42:43]             // inBounds & must try again

/* or masks to check for exit */
s_mov_b64 s[38:39], 0x0                            // empty mask
s_or_b64 s[38:39], s[42:43], s[38:39]              // or to add threads
s_or_saveexec_b64 s[40:41], s[38:39]               // apply combined mask
s_cbranch_execnz label_0067                        // try again if not complete
label_0068:
s_mov_b64 exec, -1                                 // full mask -> exec
s_nop 0                                            // 1 wait state required when next inst writes vgprs held by previous dwordx4 store inst
/* optSingleColVgpr=0 optSharedColVgpr=0 optSGPRUsage=None optSrdIncForRow=0 */
s_sleep 5 // optimization: sync and wait
s_barrier

/******************************************/
/* Global Write Alpha Edge Batch #10 (d1,d0,vc1,vc0) = */
/*    (2,1,0,0:vw1:vaw:1)                 */
/******************************************/

/* calc coords, apply mask, and issue loads (if necessary) */
/* (d1,vc1,d0,vc0)=(2,0,1,0) */
_v_add_co_u32 v4, vcc, v0, 64                      // coord0.1: coord0 += d0*sg0*VW + vc0
v_cmp_lt_u32 s[38:39], v4, s[sgprSizeI]            // coord0 < size0
v_cmp_lt_u32 s[42:43], v1, s[sgprSizeJ]            // coord1 < size1
s_and_b64 s[42:43], s[38:39], s[42:43]             // in0 && in1
_v_add_lshl_u32 v6, v3, v4, 0x3                    // scaleToBpe: accumulate d0 lower and *= bpe into Cin addr
v_cndmask_b32 v6, -1, v6, s[42:43]                 // LDD clip if OOB. offset
_buffer_load_b64 v[10:11], v6, s[sgprSrdD:sgprSrdD+3], 0, offen offset:0 // load D (atomic) bpm=8 vaw=1
v_accvgpr_read_b32 v[vgprValuC+12], acc20 // copy acc to vreg[20]
v_accvgpr_read_b32 v[vgprValuC+13], acc21 // copy acc to vreg[21]
s_nop 1                                            // 2 wait states required before reading vgpr

/* rC *= alpha batchElements=[(2, 1, 0, 0)] */
v_mul_f64 v[vgprValuC+12:vgprValuC+12+1], s[sgprAlpha:sgprAlpha+1], v[vgprValuC+12:vgprValuC+12+1] // *= alpha
s_waitcnt vmcnt(0)                                 // wait C (atomic)

/* issue first atomic writes */
s_mov_b64 exec, s[42:43]                           // sgprs -> exec (before atomic)
v_add_f64 v[8:9], v[10:11], v[vgprValuC+12:vgprValuC+12+1] // desired value
_buffer_atomic_cmpswap_b64 v[8:11], v6, s[sgprSrdD:sgprSrdD+3] 0 offen offset:0 glc   // attempt write
s_waitcnt vmcnt(0)                                 // wait for atomic writes

/* check success of writes, update masks */
s_mov_b64 exec, s[42:43]                           // sgprs -> exec
v_cmp_ne_u64 s[38:39], v[8:9], v[10:11]            // c read during atomic != c read during prior load
s_and_b64 s[42:43], s[38:39], s[42:43]             // inBounds & must try again

/* or masks to check for exit */
s_mov_b64 s[38:39], 0x0                            // empty mask
s_or_b64 s[38:39], s[42:43], s[38:39]              // or to add threads
s_or_saveexec_b64 s[40:41], s[38:39]               // apply combined mask
s_cbranch_execz label_0070                         // if exec is zero skip loop

/* atomic CAS loop */
label_0069:

/* apply updated masks and issue writes again */
s_mov_b64 exec, s[42:43]                           // must try again
v_mov_b32 v10, v8                                  // dataV+2 = tmp (new original C)
v_mov_b32 v11, v9                                  // dataV+3 = tmp (new original C)
v_add_f64 v[8:9], v[10:11], v[vgprValuC+12:vgprValuC+12+1] // newC = rC + originalC
_buffer_atomic_cmpswap_b64 v[8:11], v6, s[sgprSrdD:sgprSrdD+3] 0 offen offset:0 glc   // attempt write
s_waitcnt vmcnt(0)                                 // wait for atomic writes

/* apply masks and check for success */
s_mov_b64 exec, s[42:43]                           // must try again
v_cmp_ne_u64 s[38:39], v[8:9], v[10:11]            // c read during atomic != c read during prior load
s_and_b64 s[42:43], s[38:39], s[42:43]             // inBounds & must try again

/* or masks to check for exit */
s_mov_b64 s[38:39], 0x0                            // empty mask
s_or_b64 s[38:39], s[42:43], s[38:39]              // or to add threads
s_or_saveexec_b64 s[40:41], s[38:39]               // apply combined mask
s_cbranch_execnz label_0069                        // try again if not complete
label_0070:
s_mov_b64 exec, -1                                 // full mask -> exec
s_nop 0                                            // 1 wait state required when next inst writes vgprs held by previous dwordx4 store inst
/* optSingleColVgpr=0 optSharedColVgpr=0 optSGPRUsage=None optSrdIncForRow=0 */
s_sleep 5 // optimization: sync and wait
s_barrier

/******************************************/
/* Global Write Alpha Edge Batch #11 (d1,d0,vc1,vc0) = */
/*    (2,1,0,1:vw1:vaw:1)                 */
/******************************************/

/* calc coords, apply mask, and issue loads (if necessary) */
/* (d1,vc1,d0,vc0)=(2,0,1,1) */
s_mov_b32 s38, 65                                  // coordOffset0 d0=1 vc0=1
_v_add_co_u32 v4, vcc, v0, s38                     // coord0.2: coord0 += d0*sg0*VW + vc0
v_cmp_lt_u32 s[38:39], v4, s[sgprSizeI]            // coord0 < size0
v_cmp_lt_u32 s[42:43], v1, s[sgprSizeJ]            // coord1 < size1
s_and_b64 s[42:43], s[38:39], s[42:43]             // in0 && in1
_v_add_lshl_u32 v6, v3, v4, 0x3                    // scaleToBpe: accumulate d0 lower and *= bpe into Cin addr
v_cndmask_b32 v6, -1, v6, s[42:43]                 // LDD clip if OOB. offset
_buffer_load_b64 v[10:11], v6, s[sgprSrdD:sgprSrdD+3], 0, offen offset:0 // load D (atomic) bpm=8 vaw=1
v_accvgpr_read_b32 v[vgprValuC+12], acc28 // copy acc to vreg[22]
v_accvgpr_read_b32 v[vgprValuC+13], acc29 // copy acc to vreg[23]
s_nop 1                                            // 2 wait states required before reading vgpr

/* rC *= alpha batchElements=[(2, 1, 0, 1)] */
v_mul_f64 v[vgprValuC+12:vgprValuC+12+1], s[sgprAlpha:sgprAlpha+1], v[vgprValuC+12:vgprValuC+12+1] // *= alpha
s_waitcnt vmcnt(0)                                 // wait C (atomic)

/* issue first atomic writes */
s_mov_b64 exec, s[42:43]                           // sgprs -> exec (before atomic)
v_add_f64 v[8:9], v[10:11], v[vgprValuC+12:vgprValuC+12+1] // desired value
_buffer_atomic_cmpswap_b64 v[8:11], v6, s[sgprSrdD:sgprSrdD+3] 0 offen offset:0 glc   // attempt write
s_waitcnt vmcnt(0)                                 // wait for atomic writes

/* check success of writes, update masks */
s_mov_b64 exec, s[42:43]                           // sgprs -> exec
v_cmp_ne_u64 s[38:39], v[8:9], v[10:11]            // c read during atomic != c read during prior load
s_and_b64 s[42:43], s[38:39], s[42:43]             // inBounds & must try again

/* or masks to check for exit */
s_mov_b64 s[38:39], 0x0                            // empty mask
s_or_b64 s[38:39], s[42:43], s[38:39]              // or to add threads
s_or_saveexec_b64 s[40:41], s[38:39]               // apply combined mask
s_cbranch_execz label_0072                         // if exec is zero skip loop

/* atomic CAS loop */
label_0071:

/* apply updated masks and issue writes again */
s_mov_b64 exec, s[42:43]                           // must try again
v_mov_b32 v10, v8                                  // dataV+2 = tmp (new original C)
v_mov_b32 v11, v9                                  // dataV+3 = tmp (new original C)
v_add_f64 v[8:9], v[10:11], v[vgprValuC+12:vgprValuC+12+1] // newC = rC + originalC
_buffer_atomic_cmpswap_b64 v[8:11], v6, s[sgprSrdD:sgprSrdD+3] 0 offen offset:0 glc   // attempt write
s_waitcnt vmcnt(0)                                 // wait for atomic writes

/* apply masks and check for success */
s_mov_b64 exec, s[42:43]                           // must try again
v_cmp_ne_u64 s[38:39], v[8:9], v[10:11]            // c read during atomic != c read during prior load
s_and_b64 s[42:43], s[38:39], s[42:43]             // inBounds & must try again

/* or masks to check for exit */
s_mov_b64 s[38:39], 0x0                            // empty mask
s_or_b64 s[38:39], s[42:43], s[38:39]              // or to add threads
s_or_saveexec_b64 s[40:41], s[38:39]               // apply combined mask
s_cbranch_execnz label_0071                        // try again if not complete
label_0072:
s_mov_b64 exec, -1                                 // full mask -> exec
s_nop 0                                            // 1 wait state required when next inst writes vgprs held by previous dwordx4 store inst
/* optSingleColVgpr=0 optSharedColVgpr=0 optSGPRUsage=None optSrdIncForRow=0 */
s_sleep 5 // optimization: sync and wait
s_barrier

/******************************************/
/* Global Write Alpha Edge Batch #12 (d1,d0,vc1,vc0) = */
/*    (3,0,0,0:vw1:vaw:1)                 */
/******************************************/

/* calc coords, apply mask, and issue loads (if necessary) */
/* (d1,vc1,d0,vc0)=(3,0,0,0) */
_v_add_co_u32 v1, vcc, v1, 4                       // coord1.1: coord1Vgpr += d1*sg1*VW + vc1

/* Fix for UseInitialStridesCD, emitAddressSetupCode */
s_mul_i32 s38, s[sgprStrideC1J], 4                 // scale stride
_v_add_u32 v2, v2, s38                             // ROWINC- Move cinRowPtr to next row
s_mul_i32 s38, s[sgprStrideD1J], 4                 // scale stride
_v_add_u32 v3, v3, s38                             // Move coutRowPtr to next row
v_cmp_lt_u32 s[38:39], v0, s[sgprSizeI]            // coord0 < size0
v_cmp_lt_u32 s[42:43], v1, s[sgprSizeJ]            // coord1 < size1
s_and_b64 s[42:43], s[38:39], s[42:43]             // in0 && in1
_v_add_lshl_u32 v6, v3, v0, 0x3                    // scaleToBpe: accumulate d0 lower and *= bpe into Cin addr
v_cndmask_b32 v6, -1, v6, s[42:43]                 // LDD clip if OOB. offset
_buffer_load_b64 v[10:11], v6, s[sgprSrdD:sgprSrdD+3], 0, offen offset:0 // load D (atomic) bpm=8 vaw=1
v_accvgpr_read_b32 v[vgprValuC+12], acc6 // copy acc to vreg[24]
v_accvgpr_read_b32 v[vgprValuC+13], acc7 // copy acc to vreg[25]
s_nop 1                                            // 2 wait states required before reading vgpr

/* rC *= alpha batchElements=[(3, 0, 0, 0)] */
v_mul_f64 v[vgprValuC+12:vgprValuC+12+1], s[sgprAlpha:sgprAlpha+1], v[vgprValuC+12:vgprValuC+12+1] // *= alpha
s_waitcnt vmcnt(0)                                 // wait C (atomic)

/* issue first atomic writes */
s_mov_b64 exec, s[42:43]                           // sgprs -> exec (before atomic)
v_add_f64 v[8:9], v[10:11], v[vgprValuC+12:vgprValuC+12+1] // desired value
_buffer_atomic_cmpswap_b64 v[8:11], v6, s[sgprSrdD:sgprSrdD+3] 0 offen offset:0 glc   // attempt write
s_waitcnt vmcnt(0)                                 // wait for atomic writes

/* check success of writes, update masks */
s_mov_b64 exec, s[42:43]                           // sgprs -> exec
v_cmp_ne_u64 s[38:39], v[8:9], v[10:11]            // c read during atomic != c read during prior load
s_and_b64 s[42:43], s[38:39], s[42:43]             // inBounds & must try again

/* or masks to check for exit */
s_mov_b64 s[38:39], 0x0                            // empty mask
s_or_b64 s[38:39], s[42:43], s[38:39]              // or to add threads
s_or_saveexec_b64 s[40:41], s[38:39]               // apply combined mask
s_cbranch_execz label_0074                         // if exec is zero skip loop

/* atomic CAS loop */
label_0073:

/* apply updated masks and issue writes again */
s_mov_b64 exec, s[42:43]                           // must try again
v_mov_b32 v10, v8                                  // dataV+2 = tmp (new original C)
v_mov_b32 v11, v9                                  // dataV+3 = tmp (new original C)
v_add_f64 v[8:9], v[10:11], v[vgprValuC+12:vgprValuC+12+1] // newC = rC + originalC
_buffer_atomic_cmpswap_b64 v[8:11], v6, s[sgprSrdD:sgprSrdD+3] 0 offen offset:0 glc   // attempt write
s_waitcnt vmcnt(0)                                 // wait for atomic writes

/* apply masks and check for success */
s_mov_b64 exec, s[42:43]                           // must try again
v_cmp_ne_u64 s[38:39], v[8:9], v[10:11]            // c read during atomic != c read during prior load
s_and_b64 s[42:43], s[38:39], s[42:43]             // inBounds & must try again

/* or masks to check for exit */
s_mov_b64 s[38:39], 0x0                            // empty mask
s_or_b64 s[38:39], s[42:43], s[38:39]              // or to add threads
s_or_saveexec_b64 s[40:41], s[38:39]               // apply combined mask
s_cbranch_execnz label_0073                        // try again if not complete
label_0074:
s_mov_b64 exec, -1                                 // full mask -> exec
s_nop 0                                            // 1 wait state required when next inst writes vgprs held by previous dwordx4 store inst
/* optSingleColVgpr=0 optSharedColVgpr=0 optSGPRUsage=None optSrdIncForRow=0 */
s_sleep 5 // optimization: sync and wait
s_barrier

/******************************************/
/* Global Write Alpha Edge Batch #13 (d1,d0,vc1,vc0) = */
/*    (3,0,0,1:vw1:vaw:1)                 */
/******************************************/

/* calc coords, apply mask, and issue loads (if necessary) */
/* (d1,vc1,d0,vc0)=(3,0,0,1) */
_v_add_co_u32 v4, vcc, v0, 1                       // coord0.1: coord0 += d0*sg0*VW + vc0
v_cmp_lt_u32 s[38:39], v4, s[sgprSizeI]            // coord0 < size0
v_cmp_lt_u32 s[42:43], v1, s[sgprSizeJ]            // coord1 < size1
s_and_b64 s[42:43], s[38:39], s[42:43]             // in0 && in1
_v_add_lshl_u32 v6, v3, v4, 0x3                    // scaleToBpe: accumulate d0 lower and *= bpe into Cin addr
v_cndmask_b32 v6, -1, v6, s[42:43]                 // LDD clip if OOB. offset
_buffer_load_b64 v[10:11], v6, s[sgprSrdD:sgprSrdD+3], 0, offen offset:0 // load D (atomic) bpm=8 vaw=1
v_accvgpr_read_b32 v[vgprValuC+12], acc14 // copy acc to vreg[26]
v_accvgpr_read_b32 v[vgprValuC+13], acc15 // copy acc to vreg[27]
s_nop 1                                            // 2 wait states required before reading vgpr

/* rC *= alpha batchElements=[(3, 0, 0, 1)] */
v_mul_f64 v[vgprValuC+12:vgprValuC+12+1], s[sgprAlpha:sgprAlpha+1], v[vgprValuC+12:vgprValuC+12+1] // *= alpha
s_waitcnt vmcnt(0)                                 // wait C (atomic)

/* issue first atomic writes */
s_mov_b64 exec, s[42:43]                           // sgprs -> exec (before atomic)
v_add_f64 v[8:9], v[10:11], v[vgprValuC+12:vgprValuC+12+1] // desired value
_buffer_atomic_cmpswap_b64 v[8:11], v6, s[sgprSrdD:sgprSrdD+3] 0 offen offset:0 glc   // attempt write
s_waitcnt vmcnt(0)                                 // wait for atomic writes

/* check success of writes, update masks */
s_mov_b64 exec, s[42:43]                           // sgprs -> exec
v_cmp_ne_u64 s[38:39], v[8:9], v[10:11]            // c read during atomic != c read during prior load
s_and_b64 s[42:43], s[38:39], s[42:43]             // inBounds & must try again

/* or masks to check for exit */
s_mov_b64 s[38:39], 0x0                            // empty mask
s_or_b64 s[38:39], s[42:43], s[38:39]              // or to add threads
s_or_saveexec_b64 s[40:41], s[38:39]               // apply combined mask
s_cbranch_execz label_0076                         // if exec is zero skip loop

/* atomic CAS loop */
label_0075:

/* apply updated masks and issue writes again */
s_mov_b64 exec, s[42:43]                           // must try again
v_mov_b32 v10, v8                                  // dataV+2 = tmp (new original C)
v_mov_b32 v11, v9                                  // dataV+3 = tmp (new original C)
v_add_f64 v[8:9], v[10:11], v[vgprValuC+12:vgprValuC+12+1] // newC = rC + originalC
_buffer_atomic_cmpswap_b64 v[8:11], v6, s[sgprSrdD:sgprSrdD+3] 0 offen offset:0 glc   // attempt write
s_waitcnt vmcnt(0)                                 // wait for atomic writes

/* apply masks and check for success */
s_mov_b64 exec, s[42:43]                           // must try again
v_cmp_ne_u64 s[38:39], v[8:9], v[10:11]            // c read during atomic != c read during prior load
s_and_b64 s[42:43], s[38:39], s[42:43]             // inBounds & must try again

/* or masks to check for exit */
s_mov_b64 s[38:39], 0x0                            // empty mask
s_or_b64 s[38:39], s[42:43], s[38:39]              // or to add threads
s_or_saveexec_b64 s[40:41], s[38:39]               // apply combined mask
s_cbranch_execnz label_0075                        // try again if not complete
label_0076:
s_mov_b64 exec, -1                                 // full mask -> exec
s_nop 0                                            // 1 wait state required when next inst writes vgprs held by previous dwordx4 store inst
/* optSingleColVgpr=0 optSharedColVgpr=0 optSGPRUsage=None optSrdIncForRow=0 */
s_sleep 5 // optimization: sync and wait
s_barrier

/******************************************/
/* Global Write Alpha Edge Batch #14 (d1,d0,vc1,vc0) = */
/*    (3,1,0,0:vw1:vaw:1)                 */
/******************************************/

/* calc coords, apply mask, and issue loads (if necessary) */
/* (d1,vc1,d0,vc0)=(3,0,1,0) */
_v_add_co_u32 v4, vcc, v0, 64                      // coord0.1: coord0 += d0*sg0*VW + vc0
v_cmp_lt_u32 s[38:39], v4, s[sgprSizeI]            // coord0 < size0
v_cmp_lt_u32 s[42:43], v1, s[sgprSizeJ]            // coord1 < size1
s_and_b64 s[42:43], s[38:39], s[42:43]             // in0 && in1
_v_add_lshl_u32 v6, v3, v4, 0x3                    // scaleToBpe: accumulate d0 lower and *= bpe into Cin addr
v_cndmask_b32 v6, -1, v6, s[42:43]                 // LDD clip if OOB. offset
_buffer_load_b64 v[10:11], v6, s[sgprSrdD:sgprSrdD+3], 0, offen offset:0 // load D (atomic) bpm=8 vaw=1
v_accvgpr_read_b32 v[vgprValuC+12], acc22 // copy acc to vreg[28]
v_accvgpr_read_b32 v[vgprValuC+13], acc23 // copy acc to vreg[29]
s_nop 1                                            // 2 wait states required before reading vgpr

/* rC *= alpha batchElements=[(3, 1, 0, 0)] */
v_mul_f64 v[vgprValuC+12:vgprValuC+12+1], s[sgprAlpha:sgprAlpha+1], v[vgprValuC+12:vgprValuC+12+1] // *= alpha
s_waitcnt vmcnt(0)                                 // wait C (atomic)

/* issue first atomic writes */
s_mov_b64 exec, s[42:43]                           // sgprs -> exec (before atomic)
v_add_f64 v[8:9], v[10:11], v[vgprValuC+12:vgprValuC+12+1] // desired value
_buffer_atomic_cmpswap_b64 v[8:11], v6, s[sgprSrdD:sgprSrdD+3] 0 offen offset:0 glc   // attempt write
s_waitcnt vmcnt(0)                                 // wait for atomic writes

/* check success of writes, update masks */
s_mov_b64 exec, s[42:43]                           // sgprs -> exec
v_cmp_ne_u64 s[38:39], v[8:9], v[10:11]            // c read during atomic != c read during prior load
s_and_b64 s[42:43], s[38:39], s[42:43]             // inBounds & must try again

/* or masks to check for exit */
s_mov_b64 s[38:39], 0x0                            // empty mask
s_or_b64 s[38:39], s[42:43], s[38:39]              // or to add threads
s_or_saveexec_b64 s[40:41], s[38:39]               // apply combined mask
s_cbranch_execz label_0078                         // if exec is zero skip loop

/* atomic CAS loop */
label_0077:

/* apply updated masks and issue writes again */
s_mov_b64 exec, s[42:43]                           // must try again
v_mov_b32 v10, v8                                  // dataV+2 = tmp (new original C)
v_mov_b32 v11, v9                                  // dataV+3 = tmp (new original C)
v_add_f64 v[8:9], v[10:11], v[vgprValuC+12:vgprValuC+12+1] // newC = rC + originalC
_buffer_atomic_cmpswap_b64 v[8:11], v6, s[sgprSrdD:sgprSrdD+3] 0 offen offset:0 glc   // attempt write
s_waitcnt vmcnt(0)                                 // wait for atomic writes

/* apply masks and check for success */
s_mov_b64 exec, s[42:43]                           // must try again
v_cmp_ne_u64 s[38:39], v[8:9], v[10:11]            // c read during atomic != c read during prior load
s_and_b64 s[42:43], s[38:39], s[42:43]             // inBounds & must try again

/* or masks to check for exit */
s_mov_b64 s[38:39], 0x0                            // empty mask
s_or_b64 s[38:39], s[42:43], s[38:39]              // or to add threads
s_or_saveexec_b64 s[40:41], s[38:39]               // apply combined mask
s_cbranch_execnz label_0077                        // try again if not complete
label_0078:
s_mov_b64 exec, -1                                 // full mask -> exec
s_nop 0                                            // 1 wait state required when next inst writes vgprs held by previous dwordx4 store inst
/* optSingleColVgpr=0 optSharedColVgpr=0 optSGPRUsage=None optSrdIncForRow=0 */
s_sleep 5 // optimization: sync and wait
s_barrier

/******************************************/
/* Global Write Alpha Edge Batch #15 (d1,d0,vc1,vc0) = */
/*    (3,1,0,1:vw1:vaw:1)                 */
/******************************************/

/* calc coords, apply mask, and issue loads (if necessary) */
/* (d1,vc1,d0,vc0)=(3,0,1,1) */
s_mov_b32 s38, 65                                  // coordOffset0 d0=1 vc0=1
_v_add_co_u32 v4, vcc, v0, s38                     // coord0.2: coord0 += d0*sg0*VW + vc0
v_cmp_lt_u32 s[38:39], v4, s[sgprSizeI]            // coord0 < size0
v_cmp_lt_u32 s[42:43], v1, s[sgprSizeJ]            // coord1 < size1
s_and_b64 s[42:43], s[38:39], s[42:43]             // in0 && in1
_v_add_lshl_u32 v6, v3, v4, 0x3                    // scaleToBpe: accumulate d0 lower and *= bpe into Cin addr
v_cndmask_b32 v6, -1, v6, s[42:43]                 // LDD clip if OOB. offset
_buffer_load_b64 v[10:11], v6, s[sgprSrdD:sgprSrdD+3], 0, offen offset:0 // load D (atomic) bpm=8 vaw=1
v_accvgpr_read_b32 v[vgprValuC+12], acc30 // copy acc to vreg[30]
v_accvgpr_read_b32 v[vgprValuC+13], acc31 // copy acc to vreg[31]
s_nop 1                                            // 2 wait states required before reading vgpr

/* rC *= alpha batchElements=[(3, 1, 0, 1)] */
v_mul_f64 v[vgprValuC+12:vgprValuC+12+1], s[sgprAlpha:sgprAlpha+1], v[vgprValuC+12:vgprValuC+12+1] // *= alpha
s_waitcnt vmcnt(0)                                 // wait C (atomic)

/* issue first atomic writes */
s_mov_b64 exec, s[42:43]                           // sgprs -> exec (before atomic)
v_add_f64 v[8:9], v[10:11], v[vgprValuC+12:vgprValuC+12+1] // desired value
_buffer_atomic_cmpswap_b64 v[8:11], v6, s[sgprSrdD:sgprSrdD+3] 0 offen offset:0 glc   // attempt write
s_waitcnt vmcnt(0)                                 // wait for atomic writes

/* check success of writes, update masks */
s_mov_b64 exec, s[42:43]                           // sgprs -> exec
v_cmp_ne_u64 s[38:39], v[8:9], v[10:11]            // c read during atomic != c read during prior load
s_and_b64 s[42:43], s[38:39], s[42:43]             // inBounds & must try again

/* or masks to check for exit */
s_mov_b64 s[38:39], 0x0                            // empty mask
s_or_b64 s[38:39], s[42:43], s[38:39]              // or to add threads
s_or_saveexec_b64 s[40:41], s[38:39]               // apply combined mask
s_cbranch_execz label_0080                         // if exec is zero skip loop

/* atomic CAS loop */
label_0079:

/* apply updated masks and issue writes again */
s_mov_b64 exec, s[42:43]                           // must try again
v_mov_b32 v10, v8                                  // dataV+2 = tmp (new original C)
v_mov_b32 v11, v9                                  // dataV+3 = tmp (new original C)
v_add_f64 v[8:9], v[10:11], v[vgprValuC+12:vgprValuC+12+1] // newC = rC + originalC
_buffer_atomic_cmpswap_b64 v[8:11], v6, s[sgprSrdD:sgprSrdD+3] 0 offen offset:0 glc   // attempt write
s_waitcnt vmcnt(0)                                 // wait for atomic writes

/* apply masks and check for success */
s_mov_b64 exec, s[42:43]                           // must try again
v_cmp_ne_u64 s[38:39], v[8:9], v[10:11]            // c read during atomic != c read during prior load
s_and_b64 s[42:43], s[38:39], s[42:43]             // inBounds & must try again

/* or masks to check for exit */
s_mov_b64 s[38:39], 0x0                            // empty mask
s_or_b64 s[38:39], s[42:43], s[38:39]              // or to add threads
s_or_saveexec_b64 s[40:41], s[38:39]               // apply combined mask
s_cbranch_execnz label_0079                        // try again if not complete
label_0080:
s_mov_b64 exec, -1                                 // full mask -> exec
s_nop 0                                            // 1 wait state required when next inst writes vgprs held by previous dwordx4 store inst
s_branch label_GW_End_28                           // jump to end
label_GW_End_28:

label_0081:  /// KernelEnd
s_endpgm                                           // Kernel End

